;; amdgpu-corpus repo=zjin-lcf/HeCBench kind=compiled arch=gfx906 opt=O3
	.amdgcn_target "amdgcn-amd-amdhsa--gfx906"
	.amdhsa_code_object_version 6
	.text
	.protected	_Z13complex_floatPci    ; -- Begin function _Z13complex_floatPci
	.globl	_Z13complex_floatPci
	.p2align	8
	.type	_Z13complex_floatPci,@function
_Z13complex_floatPci:                   ; @_Z13complex_floatPci
; %bb.0:
	s_load_dword s0, s[4:5], 0x1c
	s_load_dword s1, s[4:5], 0x8
	s_waitcnt lgkmcnt(0)
	s_and_b32 s0, s0, 0xffff
	s_mul_i32 s6, s6, s0
	v_add_u32_e32 v0, s6, v0
	v_cmp_gt_i32_e32 vcc, s1, v0
	s_and_saveexec_b64 s[0:1], vcc
	s_cbranch_execz .LBB0_8
; %bb.1:
	v_ashrrev_i32_e32 v8, 31, v0
	v_cmp_ne_u32_e32 vcc, 0, v0
	s_mov_b32 s10, 0x26f19d38
	v_mov_b32_e32 v1, 0xe48e2826
	v_mov_b32_e32 v2, 0x26f19d38
	s_and_saveexec_b64 s[0:1], vcc
	s_cbranch_execz .LBB0_7
; %bb.2:
	v_and_b32_e32 v1, 0x7fffffff, v8
	v_mov_b32_e32 v2, 1
	v_mov_b32_e32 v4, 0
	;; [unrolled: 1-line block ×4, first 2 shown]
	s_mov_b64 s[2:3], 0
	s_mov_b32 s11, 0xe48e2825
	s_mov_b64 s[6:7], 1
	v_mov_b32_e32 v5, 0
	v_mov_b32_e32 v6, v0
	s_branch .LBB0_4
.LBB0_3:                                ;   in Loop: Header=BB0_4 Depth=1
	s_or_b64 exec, exec, s[8:9]
	s_add_u32 s8, s11, 1
	s_addc_u32 s9, s10, 0
	s_mul_i32 s7, s8, s7
	s_mul_hi_u32 s12, s8, s6
	s_add_i32 s7, s12, s7
	s_mul_i32 s9, s9, s6
	s_add_i32 s7, s7, s9
	s_mul_i32 s6, s8, s6
	s_mul_i32 s8, s11, s10
	s_mul_hi_u32 s9, s11, s11
	s_add_i32 s9, s9, s8
	v_cmp_gt_u64_e32 vcc, 2, v[6:7]
	s_add_i32 s10, s9, s8
	v_lshrrev_b64 v[6:7], 1, v[6:7]
	s_mul_i32 s11, s11, s11
	s_or_b64 s[2:3], vcc, s[2:3]
	s_andn2_b64 exec, exec, s[2:3]
	s_cbranch_execz .LBB0_6
.LBB0_4:                                ; =>This Inner Loop Header: Depth=1
	v_and_b32_e32 v1, 1, v6
	v_cmp_eq_u32_e32 vcc, 1, v1
	s_and_saveexec_b64 s[8:9], vcc
	s_cbranch_execz .LBB0_3
; %bb.5:                                ;   in Loop: Header=BB0_4 Depth=1
	v_mov_b32_e32 v10, s7
	v_mov_b32_e32 v9, s6
	v_mad_u64_u32 v[9:10], s[12:13], s11, v4, v[9:10]
	v_mul_lo_u32 v5, s11, v5
	v_mul_lo_u32 v4, s10, v4
	;; [unrolled: 1-line block ×4, first 2 shown]
	v_mad_u64_u32 v[2:3], s[12:13], s11, v2, 0
	v_add3_u32 v10, v4, v10, v5
	v_mov_b32_e32 v4, v9
	v_add3_u32 v3, v3, v11, v1
	v_mov_b32_e32 v5, v10
	s_branch .LBB0_3
.LBB0_6:
	s_or_b64 exec, exec, s[2:3]
	v_add_co_u32_e32 v1, vcc, v4, v2
	s_mov_b32 s2, 0x26f19d38
	v_addc_co_u32_e32 v2, vcc, v5, v3, vcc
	v_mul_lo_u32 v3, v1, s2
	s_mov_b32 s2, 0xe48e2825
	v_mul_lo_u32 v4, v2, s2
	v_mad_u64_u32 v[1:2], s[2:3], v1, s2, 1
	v_add3_u32 v2, v4, v2, v3
	v_and_b32_e32 v2, 0x7fffffff, v2
.LBB0_7:
	s_or_b64 exec, exec, s[0:1]
	v_cvt_f64_u32_e32 v[3:4], v2
	v_cvt_f64_u32_e32 v[5:6], v1
	s_load_dwordx2 s[2:3], s[4:5], 0x0
	s_mov_b32 s5, 0xe48e2825
	v_ldexp_f64 v[3:4], v[3:4], 32
	s_mov_b32 s6, 0x26f19d38
	v_mul_lo_u32 v2, v2, s5
	s_movk_i32 s4, 0xffc1
	v_add_f64 v[3:4], v[3:4], v[5:6]
	v_mad_u64_u32 v[5:6], s[0:1], v1, s5, 1
	v_mul_lo_u32 v1, v1, s6
	v_add3_u32 v9, v2, v6, v1
	v_and_b32_e32 v1, 0x7fffffff, v9
	v_cvt_f64_u32_e32 v[1:2], v1
	v_cvt_f64_u32_e32 v[6:7], v5
	v_ldexp_f64 v[3:4], v[3:4], s4
	v_ldexp_f64 v[1:2], v[1:2], 32
	v_cvt_f32_f64_e32 v3, v[3:4]
	v_add_f64 v[1:2], v[1:2], v[6:7]
	v_mul_lo_u32 v6, v5, s6
	v_mul_lo_u32 v7, v9, s5
	v_ldexp_f64 v[1:2], v[1:2], s4
	v_cvt_f32_f64_e32 v4, v[1:2]
	v_mad_u64_u32 v[1:2], s[0:1], v5, s5, 0
	v_add3_u32 v2, v2, v6, v7
	v_add_co_u32_e32 v7, vcc, 1, v1
	v_addc_co_u32_e32 v5, vcc, 0, v2, vcc
	v_and_b32_e32 v5, 0x7fffffff, v5
	v_cvt_f64_u32_e32 v[5:6], v5
	v_cvt_f64_u32_e32 v[9:10], v7
	v_ldexp_f64 v[5:6], v[5:6], 32
	v_add_f64 v[5:6], v[5:6], v[9:10]
	v_mul_lo_u32 v9, v2, s5
	v_mul_lo_u32 v10, v1, s6
	s_mov_b32 s6, 0x3a83126f
	v_ldexp_f64 v[5:6], v[5:6], s4
	v_cvt_f32_f64_e32 v7, v[5:6]
	v_mov_b32_e32 v5, 0xe48e2826
	v_mov_b32_e32 v6, 0x26f19d38
	v_mad_u64_u32 v[1:2], s[0:1], v1, s5, v[5:6]
	s_mov_b32 s5, 0xf800000
	v_add3_u32 v2, v9, v2, v10
	v_and_b32_e32 v2, 0x7fffffff, v2
	v_cvt_f64_u32_e32 v[5:6], v2
	v_cvt_f64_u32_e32 v[1:2], v1
	v_ldexp_f64 v[5:6], v[5:6], 32
	v_add_f64 v[1:2], v[5:6], v[1:2]
	v_ldexp_f64 v[1:2], v[1:2], s4
	s_mov_b32 s4, 0x7f7fffff
	v_cvt_f32_f64_e32 v2, v[1:2]
	v_mul_f32_e32 v10, v4, v2
	v_mul_f32_e32 v6, v3, v2
	v_fma_f32 v5, v3, v7, -v10
	v_fmac_f32_e32 v6, v4, v7
	v_cmp_gt_f32_e64 s[0:1], |v5|, |v6|
	v_cndmask_b32_e64 v9, |v6|, |v5|, s[0:1]
	v_cndmask_b32_e64 v11, |v5|, |v6|, s[0:1]
	v_div_scale_f32 v1, s[0:1], v9, v9, v11
	v_add_f32_e64 v5, |v5|, |v6|
	v_fmac_f32_e32 v10, v3, v7
	v_rcp_f32_e32 v12, v1
	v_fma_f32 v13, -v1, v12, 1.0
	v_fmac_f32_e32 v12, v13, v12
	v_div_scale_f32 v13, vcc, v11, v9, v11
	v_mul_f32_e32 v14, v13, v12
	v_fma_f32 v15, -v1, v14, v13
	v_fmac_f32_e32 v14, v15, v12
	v_fma_f32 v1, -v1, v14, v13
	v_div_fmas_f32 v1, v1, v12, v14
	v_div_fixup_f32 v1, v1, v9, v11
	v_fma_f32 v1, v1, v1, 1.0
	v_cmp_gt_f32_e32 vcc, s5, v1
	v_mul_f32_e32 v12, 0x4f800000, v1
	v_cndmask_b32_e32 v12, v1, v12, vcc
	v_sqrt_f32_e32 v1, v12
	v_add_u32_e32 v13, -1, v1
	v_fma_f32 v14, -v13, v1, v12
	v_cmp_ge_f32_e64 s[0:1], 0, v14
	v_add_u32_e32 v14, 1, v1
	v_cndmask_b32_e64 v13, v1, v13, s[0:1]
	v_fma_f32 v1, -v14, v1, v12
	v_cmp_lt_f32_e64 s[0:1], 0, v1
	v_cndmask_b32_e64 v1, v13, v14, s[0:1]
	v_mul_f32_e32 v13, 0x37800000, v1
	v_cndmask_b32_e32 v13, v1, v13, vcc
	v_mov_b32_e32 v1, 0x260
	v_cmp_class_f32_e32 vcc, v12, v1
	v_cndmask_b32_e32 v12, v13, v12, vcc
	v_mul_f32_e32 v12, v9, v12
	v_cmp_eq_f32_e32 vcc, 0, v9
	v_max_f32_e32 v9, v9, v11
	v_cmp_lt_f32_e64 s[0:1], s4, v9
	s_or_b64 vcc, s[0:1], vcc
	v_cndmask_b32_e32 v5, v12, v5, vcc
	v_cmp_gt_f32_e32 vcc, v3, v4
	v_cndmask_b32_e32 v6, v4, v3, vcc
	v_cndmask_b32_e32 v9, v3, v4, vcc
	v_div_scale_f32 v11, s[0:1], v6, v6, v9
	v_rcp_f32_e32 v12, v11
	v_fma_f32 v13, -v11, v12, 1.0
	v_fmac_f32_e32 v12, v13, v12
	v_div_scale_f32 v13, vcc, v9, v6, v9
	v_mul_f32_e32 v14, v13, v12
	v_fma_f32 v15, -v11, v14, v13
	v_fmac_f32_e32 v14, v15, v12
	v_fma_f32 v11, -v11, v14, v13
	v_div_fmas_f32 v11, v11, v12, v14
	v_div_fixup_f32 v11, v11, v6, v9
	v_fma_f32 v11, v11, v11, 1.0
	v_cmp_gt_f32_e32 vcc, s5, v11
	v_mul_f32_e32 v12, 0x4f800000, v11
	v_cndmask_b32_e32 v11, v11, v12, vcc
	v_sqrt_f32_e32 v12, v11
	v_add_u32_e32 v13, -1, v12
	v_fma_f32 v14, -v13, v12, v11
	v_cmp_ge_f32_e64 s[0:1], 0, v14
	v_add_u32_e32 v14, 1, v12
	v_cndmask_b32_e64 v13, v12, v13, s[0:1]
	v_fma_f32 v12, -v14, v12, v11
	v_cmp_lt_f32_e64 s[0:1], 0, v12
	v_cndmask_b32_e64 v12, v13, v14, s[0:1]
	v_mul_f32_e32 v13, 0x37800000, v12
	v_cndmask_b32_e32 v12, v12, v13, vcc
	v_cmp_class_f32_e32 vcc, v11, v1
	v_cndmask_b32_e32 v11, v12, v11, vcc
	v_mul_f32_e32 v11, v6, v11
	v_cmp_eq_f32_e32 vcc, 0, v6
	v_max_f32_e32 v6, v6, v9
	v_cmp_lt_f32_e64 s[0:1], s4, v6
	s_or_b64 vcc, s[0:1], vcc
	v_add_f32_e32 v6, v3, v4
	v_cndmask_b32_e32 v6, v11, v6, vcc
	v_cmp_gt_f32_e32 vcc, v7, v2
	v_cndmask_b32_e32 v9, v2, v7, vcc
	v_cndmask_b32_e32 v11, v7, v2, vcc
	v_div_scale_f32 v12, s[0:1], v9, v9, v11
	v_rcp_f32_e32 v13, v12
	v_fma_f32 v14, -v12, v13, 1.0
	v_fmac_f32_e32 v13, v14, v13
	v_div_scale_f32 v14, vcc, v11, v9, v11
	v_mul_f32_e32 v15, v14, v13
	v_fma_f32 v16, -v12, v15, v14
	v_fmac_f32_e32 v15, v16, v13
	v_fma_f32 v12, -v12, v15, v14
	v_div_fmas_f32 v12, v12, v13, v15
	v_div_fixup_f32 v12, v12, v9, v11
	v_fma_f32 v12, v12, v12, 1.0
	v_cmp_gt_f32_e32 vcc, s5, v12
	v_mul_f32_e32 v13, 0x4f800000, v12
	v_cndmask_b32_e32 v12, v12, v13, vcc
	v_sqrt_f32_e32 v13, v12
	v_add_u32_e32 v14, -1, v13
	v_fma_f32 v15, -v14, v13, v12
	v_cmp_ge_f32_e64 s[0:1], 0, v15
	v_add_u32_e32 v15, 1, v13
	v_cndmask_b32_e64 v14, v13, v14, s[0:1]
	v_fma_f32 v13, -v15, v13, v12
	v_cmp_lt_f32_e64 s[0:1], 0, v13
	v_cndmask_b32_e64 v13, v14, v15, s[0:1]
	v_mul_f32_e32 v14, 0x37800000, v13
	v_cndmask_b32_e32 v13, v13, v14, vcc
	v_cmp_class_f32_e32 vcc, v12, v1
	v_cndmask_b32_e32 v12, v13, v12, vcc
	v_mul_f32_e32 v12, v9, v12
	v_cmp_eq_f32_e32 vcc, 0, v9
	v_max_f32_e32 v9, v9, v11
	v_cmp_lt_f32_e64 s[0:1], s4, v9
	s_or_b64 vcc, s[0:1], vcc
	v_add_f32_e32 v11, v7, v2
	v_cndmask_b32_e32 v9, v12, v11, vcc
	v_fma_f32 v5, -v6, v9, v5
	v_cmp_lt_f32_e64 s[8:9], |v5|, s6
	v_add_f32_e32 v5, v3, v7
	v_add_f32_e32 v6, v4, v2
	v_cmp_gt_f32_e64 s[0:1], |v5|, |v6|
	v_cndmask_b32_e64 v9, |v6|, |v5|, s[0:1]
	v_cndmask_b32_e64 v12, |v5|, |v6|, s[0:1]
	v_div_scale_f32 v13, s[0:1], v9, v9, v12
	v_rcp_f32_e32 v14, v13
	v_fma_f32 v15, -v13, v14, 1.0
	v_fmac_f32_e32 v14, v15, v14
	v_div_scale_f32 v15, vcc, v12, v9, v12
	v_mul_f32_e32 v16, v15, v14
	v_fma_f32 v17, -v13, v16, v15
	v_fmac_f32_e32 v16, v17, v14
	v_fma_f32 v13, -v13, v16, v15
	v_div_fmas_f32 v13, v13, v14, v16
	v_div_fixup_f32 v13, v13, v9, v12
	v_fma_f32 v13, v13, v13, 1.0
	v_cmp_gt_f32_e32 vcc, s5, v13
	v_mul_f32_e32 v14, 0x4f800000, v13
	v_cndmask_b32_e32 v13, v13, v14, vcc
	v_sqrt_f32_e32 v14, v13
	v_add_u32_e32 v15, -1, v14
	v_fma_f32 v16, -v15, v14, v13
	v_cmp_ge_f32_e64 s[0:1], 0, v16
	v_add_u32_e32 v16, 1, v14
	v_cndmask_b32_e64 v15, v14, v15, s[0:1]
	v_fma_f32 v14, -v16, v14, v13
	v_cmp_lt_f32_e64 s[0:1], 0, v14
	v_cndmask_b32_e64 v14, v15, v16, s[0:1]
	v_mul_f32_e32 v15, 0x37800000, v14
	v_cndmask_b32_e32 v14, v14, v15, vcc
	v_cmp_class_f32_e32 vcc, v13, v1
	v_cndmask_b32_e32 v13, v14, v13, vcc
	v_mul_f32_e32 v13, v9, v13
	v_cmp_eq_f32_e32 vcc, 0, v9
	v_max_f32_e32 v9, v9, v12
	v_cmp_lt_f32_e64 s[0:1], s4, v9
	s_or_b64 vcc, s[0:1], vcc
	v_add_f32_e64 v9, |v5|, |v6|
	v_sub_f32_e64 v12, -v2, v4
	v_mul_f32_e32 v5, v5, v5
	v_cndmask_b32_e32 v9, v13, v9, vcc
	v_fma_f32 v5, v6, v12, -v5
	v_fmac_f32_e32 v5, v9, v9
	v_cmp_lt_f32_e64 s[0:1], |v5|, s6
	v_sub_f32_e32 v9, v3, v7
	v_sub_f32_e32 v12, v4, v2
	v_cndmask_b32_e64 v5, 0, 1, s[0:1]
	v_cmp_gt_f32_e64 s[0:1], |v9|, |v12|
	v_cndmask_b32_e64 v13, |v12|, |v9|, s[0:1]
	v_cndmask_b32_e64 v14, |v9|, |v12|, s[0:1]
	v_div_scale_f32 v15, s[0:1], v13, v13, v14
	v_cndmask_b32_e64 v6, 0, 1, s[8:9]
	v_rcp_f32_e32 v16, v15
	v_fma_f32 v17, -v15, v16, 1.0
	v_fmac_f32_e32 v16, v17, v16
	v_div_scale_f32 v17, vcc, v14, v13, v14
	v_mul_f32_e32 v18, v17, v16
	v_fma_f32 v19, -v15, v18, v17
	v_fmac_f32_e32 v18, v19, v16
	v_fma_f32 v15, -v15, v18, v17
	v_div_fmas_f32 v15, v15, v16, v18
	v_div_fixup_f32 v15, v15, v13, v14
	v_fma_f32 v15, v15, v15, 1.0
	v_cmp_gt_f32_e32 vcc, s5, v15
	v_mul_f32_e32 v16, 0x4f800000, v15
	v_cndmask_b32_e32 v15, v15, v16, vcc
	v_sqrt_f32_e32 v16, v15
	v_add_u32_e32 v17, -1, v16
	v_fma_f32 v18, -v17, v16, v15
	v_cmp_ge_f32_e64 s[0:1], 0, v18
	v_add_u32_e32 v18, 1, v16
	v_cndmask_b32_e64 v17, v16, v17, s[0:1]
	v_fma_f32 v16, -v18, v16, v15
	v_cmp_lt_f32_e64 s[0:1], 0, v16
	v_cndmask_b32_e64 v16, v17, v18, s[0:1]
	v_mul_f32_e32 v17, 0x37800000, v16
	v_cndmask_b32_e32 v16, v16, v17, vcc
	v_cmp_class_f32_e32 vcc, v15, v1
	v_cndmask_b32_e32 v15, v16, v15, vcc
	v_mul_f32_e32 v15, v13, v15
	v_cmp_eq_f32_e32 vcc, 0, v13
	v_max_f32_e32 v13, v13, v14
	v_cmp_lt_f32_e64 s[0:1], s4, v13
	s_or_b64 vcc, s[0:1], vcc
	v_add_f32_e64 v13, |v9|, |v12|
	v_sub_f32_e32 v14, v2, v4
	v_mul_f32_e32 v9, v9, v9
	v_cndmask_b32_e32 v13, v15, v13, vcc
	v_fma_f32 v9, v12, v14, -v9
	v_fmac_f32_e32 v9, v13, v13
	v_add_f32_e32 v12, v10, v10
	v_cmp_lt_f32_e64 s[0:1], |v9|, s6
	v_fmac_f32_e32 v12, -2.0, v10
	v_cndmask_b32_e64 v9, 0, 1, s[0:1]
	v_cmp_lt_f32_e64 s[0:1], |v12|, s6
	v_cndmask_b32_e64 v10, 0, 1, s[0:1]
	v_div_scale_f32 v12, s[0:1], v11, v11, 1.0
	v_rcp_f32_e32 v13, v12
	v_fma_f32 v14, -v12, v13, 1.0
	v_fmac_f32_e32 v13, v14, v13
	v_div_scale_f32 v14, vcc, 1.0, v11, 1.0
	v_mul_f32_e32 v15, v14, v13
	v_fma_f32 v16, -v12, v15, v14
	v_fmac_f32_e32 v15, v16, v13
	v_fma_f32 v12, -v12, v15, v14
	v_div_fmas_f32 v12, v12, v13, v15
	v_div_fixup_f32 v13, v12, v11, 1.0
	v_mul_f32_e32 v11, v13, v3
	v_mul_f32_e32 v3, v13, v7
	;; [unrolled: 1-line block ×4, first 2 shown]
	v_fma_f32 v7, v14, v14, v15
	v_div_scale_f32 v12, s[0:1], v7, v7, 1.0
	v_mul_f32_e64 v4, v13, -v4
	v_mul_f32_e64 v13, v13, -v2
	v_fmac_f32_e32 v15, v13, v13
	v_rcp_f32_e32 v16, v12
	v_fma_f32 v17, -v12, v16, 1.0
	v_fmac_f32_e32 v16, v17, v16
	v_div_scale_f32 v17, vcc, 1.0, v7, 1.0
	v_mul_f32_e32 v18, v17, v16
	v_fma_f32 v19, -v12, v18, v17
	v_fmac_f32_e32 v18, v19, v16
	v_fma_f32 v12, -v12, v18, v17
	v_div_fmas_f32 v12, v12, v16, v18
	v_div_fixup_f32 v16, v12, v7, 1.0
	v_mul_f32_e32 v7, v11, v3
	v_fma_f32 v12, v4, v14, v7
	v_mul_f32_e32 v17, v12, v16
	v_mul_f32_e32 v12, v4, v3
	v_fma_f32 v3, -v11, v14, v12
	v_mul_f32_e32 v3, v3, v16
	v_cmp_gt_f32_e64 s[0:1], |v17|, |v3|
	v_cndmask_b32_e64 v14, |v3|, |v17|, s[0:1]
	v_cndmask_b32_e64 v16, |v17|, |v3|, s[0:1]
	v_div_scale_f32 v18, s[0:1], v14, v14, v16
	v_add_f32_e64 v3, |v17|, |v3|
	v_fmac_f32_e32 v7, v4, v13
	v_fma_f32 v4, -v11, v13, v12
	v_rcp_f32_e32 v19, v18
	v_fma_f32 v20, -v18, v19, 1.0
	v_fmac_f32_e32 v19, v20, v19
	v_div_scale_f32 v20, vcc, v16, v14, v16
	v_mul_f32_e32 v21, v20, v19
	v_fma_f32 v22, -v18, v21, v20
	v_fmac_f32_e32 v21, v22, v19
	v_fma_f32 v18, -v18, v21, v20
	v_div_fmas_f32 v18, v18, v19, v21
	v_div_fixup_f32 v18, v18, v14, v16
	v_fma_f32 v18, v18, v18, 1.0
	v_cmp_gt_f32_e32 vcc, s5, v18
	v_mul_f32_e32 v19, 0x4f800000, v18
	v_cndmask_b32_e32 v18, v18, v19, vcc
	v_sqrt_f32_e32 v19, v18
	v_add_u32_e32 v20, -1, v19
	v_fma_f32 v21, -v20, v19, v18
	v_cmp_ge_f32_e64 s[0:1], 0, v21
	v_add_u32_e32 v21, 1, v19
	v_cndmask_b32_e64 v20, v19, v20, s[0:1]
	v_fma_f32 v19, -v21, v19, v18
	v_cmp_lt_f32_e64 s[0:1], 0, v19
	v_cndmask_b32_e64 v19, v20, v21, s[0:1]
	v_mul_f32_e32 v20, 0x37800000, v19
	v_cndmask_b32_e32 v19, v19, v20, vcc
	v_cmp_class_f32_e32 vcc, v18, v1
	v_cndmask_b32_e32 v18, v19, v18, vcc
	v_mul_f32_e32 v18, v14, v18
	v_cmp_eq_f32_e32 vcc, 0, v14
	v_max_f32_e32 v14, v14, v16
	v_cmp_lt_f32_e64 s[0:1], s4, v14
	s_or_b64 vcc, s[0:1], vcc
	v_div_scale_f32 v2, s[0:1], v15, v15, 1.0
	v_cndmask_b32_e32 v3, v18, v3, vcc
	v_rcp_f32_e32 v14, v2
	v_fma_f32 v16, -v2, v14, 1.0
	v_fmac_f32_e32 v14, v16, v14
	v_div_scale_f32 v16, vcc, 1.0, v15, 1.0
	v_mul_f32_e32 v17, v16, v14
	v_fma_f32 v18, -v2, v17, v16
	v_fmac_f32_e32 v17, v18, v14
	v_fma_f32 v2, -v2, v17, v16
	v_div_fmas_f32 v2, v2, v14, v17
	v_div_fixup_f32 v14, v2, v15, 1.0
	v_mul_f32_e32 v2, v7, v14
	v_mul_f32_e32 v4, v4, v14
	v_cmp_gt_f32_e64 s[0:1], |v2|, |v4|
	v_cndmask_b32_e64 v7, |v4|, |v2|, s[0:1]
	v_cndmask_b32_e64 v11, |v2|, |v4|, s[0:1]
	v_div_scale_f32 v12, s[0:1], v7, v7, v11
	v_add_f32_e64 v2, |v2|, |v4|
	v_rcp_f32_e32 v13, v12
	v_fma_f32 v14, -v12, v13, 1.0
	v_fmac_f32_e32 v13, v14, v13
	v_div_scale_f32 v14, vcc, v11, v7, v11
	v_mul_f32_e32 v15, v14, v13
	v_fma_f32 v16, -v12, v15, v14
	v_fmac_f32_e32 v15, v16, v13
	v_fma_f32 v12, -v12, v15, v14
	v_div_fmas_f32 v12, v12, v13, v15
	v_div_fixup_f32 v12, v12, v7, v11
	v_fma_f32 v12, v12, v12, 1.0
	v_cmp_gt_f32_e32 vcc, s5, v12
	v_mul_f32_e32 v13, 0x4f800000, v12
	v_cndmask_b32_e32 v12, v12, v13, vcc
	v_sqrt_f32_e32 v13, v12
	v_add_u32_e32 v14, -1, v13
	v_fma_f32 v15, -v14, v13, v12
	v_cmp_ge_f32_e64 s[0:1], 0, v15
	v_add_u32_e32 v15, 1, v13
	v_cndmask_b32_e64 v14, v13, v14, s[0:1]
	v_fma_f32 v13, -v15, v13, v12
	v_cmp_lt_f32_e64 s[0:1], 0, v13
	v_cndmask_b32_e64 v13, v14, v15, s[0:1]
	v_mul_f32_e32 v14, 0x37800000, v13
	v_cndmask_b32_e32 v13, v13, v14, vcc
	v_cmp_class_f32_e32 vcc, v12, v1
	v_cndmask_b32_e32 v1, v13, v12, vcc
	v_mul_f32_e32 v1, v7, v1
	v_cmp_eq_f32_e32 vcc, 0, v7
	v_max_f32_e32 v7, v7, v11
	v_cmp_lt_f32_e64 s[0:1], s4, v7
	s_or_b64 vcc, s[0:1], vcc
	v_cndmask_b32_e32 v1, v1, v2, vcc
	v_sub_f32_e32 v1, v3, v1
	v_add_u16_e32 v2, v5, v10
	v_cmp_lt_f32_e64 s[0:1], |v1|, s6
	v_add_u16_e32 v2, v2, v6
	v_cndmask_b32_e64 v1, 0, 1, s[0:1]
	v_add_u16_e32 v2, v2, v9
	v_add_u16_e32 v2, v2, v1
	s_waitcnt lgkmcnt(0)
	v_add_co_u32_e32 v0, vcc, s2, v0
	v_mov_b32_e32 v1, s3
	v_addc_co_u32_e32 v1, vcc, v1, v8, vcc
	global_store_byte v[0:1], v2, off
.LBB0_8:
	s_endpgm
	.section	.rodata,"a",@progbits
	.p2align	6, 0x0
	.amdhsa_kernel _Z13complex_floatPci
		.amdhsa_group_segment_fixed_size 0
		.amdhsa_private_segment_fixed_size 0
		.amdhsa_kernarg_size 272
		.amdhsa_user_sgpr_count 6
		.amdhsa_user_sgpr_private_segment_buffer 1
		.amdhsa_user_sgpr_dispatch_ptr 0
		.amdhsa_user_sgpr_queue_ptr 0
		.amdhsa_user_sgpr_kernarg_segment_ptr 1
		.amdhsa_user_sgpr_dispatch_id 0
		.amdhsa_user_sgpr_flat_scratch_init 0
		.amdhsa_user_sgpr_private_segment_size 0
		.amdhsa_uses_dynamic_stack 0
		.amdhsa_system_sgpr_private_segment_wavefront_offset 0
		.amdhsa_system_sgpr_workgroup_id_x 1
		.amdhsa_system_sgpr_workgroup_id_y 0
		.amdhsa_system_sgpr_workgroup_id_z 0
		.amdhsa_system_sgpr_workgroup_info 0
		.amdhsa_system_vgpr_workitem_id 0
		.amdhsa_next_free_vgpr 23
		.amdhsa_next_free_sgpr 14
		.amdhsa_reserve_vcc 1
		.amdhsa_reserve_flat_scratch 0
		.amdhsa_float_round_mode_32 0
		.amdhsa_float_round_mode_16_64 0
		.amdhsa_float_denorm_mode_32 3
		.amdhsa_float_denorm_mode_16_64 3
		.amdhsa_dx10_clamp 1
		.amdhsa_ieee_mode 1
		.amdhsa_fp16_overflow 0
		.amdhsa_exception_fp_ieee_invalid_op 0
		.amdhsa_exception_fp_denorm_src 0
		.amdhsa_exception_fp_ieee_div_zero 0
		.amdhsa_exception_fp_ieee_overflow 0
		.amdhsa_exception_fp_ieee_underflow 0
		.amdhsa_exception_fp_ieee_inexact 0
		.amdhsa_exception_int_div_zero 0
	.end_amdhsa_kernel
	.text
.Lfunc_end0:
	.size	_Z13complex_floatPci, .Lfunc_end0-_Z13complex_floatPci
                                        ; -- End function
	.set _Z13complex_floatPci.num_vgpr, 23
	.set _Z13complex_floatPci.num_agpr, 0
	.set _Z13complex_floatPci.numbered_sgpr, 14
	.set _Z13complex_floatPci.num_named_barrier, 0
	.set _Z13complex_floatPci.private_seg_size, 0
	.set _Z13complex_floatPci.uses_vcc, 1
	.set _Z13complex_floatPci.uses_flat_scratch, 0
	.set _Z13complex_floatPci.has_dyn_sized_stack, 0
	.set _Z13complex_floatPci.has_recursion, 0
	.set _Z13complex_floatPci.has_indirect_call, 0
	.section	.AMDGPU.csdata,"",@progbits
; Kernel info:
; codeLenInByte = 2900
; TotalNumSgprs: 18
; NumVgprs: 23
; ScratchSize: 0
; MemoryBound: 0
; FloatMode: 240
; IeeeMode: 1
; LDSByteSize: 0 bytes/workgroup (compile time only)
; SGPRBlocks: 2
; VGPRBlocks: 5
; NumSGPRsForWavesPerEU: 18
; NumVGPRsForWavesPerEU: 23
; Occupancy: 10
; WaveLimiterHint : 0
; COMPUTE_PGM_RSRC2:SCRATCH_EN: 0
; COMPUTE_PGM_RSRC2:USER_SGPR: 6
; COMPUTE_PGM_RSRC2:TRAP_HANDLER: 0
; COMPUTE_PGM_RSRC2:TGID_X_EN: 1
; COMPUTE_PGM_RSRC2:TGID_Y_EN: 0
; COMPUTE_PGM_RSRC2:TGID_Z_EN: 0
; COMPUTE_PGM_RSRC2:TIDIG_COMP_CNT: 0
	.text
	.protected	_Z14complex_doublePci   ; -- Begin function _Z14complex_doublePci
	.globl	_Z14complex_doublePci
	.p2align	8
	.type	_Z14complex_doublePci,@function
_Z14complex_doublePci:                  ; @_Z14complex_doublePci
; %bb.0:
	s_load_dword s0, s[4:5], 0x1c
	s_load_dword s1, s[4:5], 0x8
	s_waitcnt lgkmcnt(0)
	s_and_b32 s0, s0, 0xffff
	s_mul_i32 s6, s6, s0
	v_add_u32_e32 v0, s6, v0
	v_cmp_gt_i32_e32 vcc, s1, v0
	s_and_saveexec_b64 s[0:1], vcc
	s_cbranch_execz .LBB1_8
; %bb.1:
	v_ashrrev_i32_e32 v23, 31, v0
	v_cmp_ne_u32_e32 vcc, 0, v0
	s_mov_b32 s10, 0x26f19d38
	v_mov_b32_e32 v1, 0xe48e2826
	v_mov_b32_e32 v2, 0x26f19d38
	s_and_saveexec_b64 s[0:1], vcc
	s_cbranch_execz .LBB1_7
; %bb.2:
	v_and_b32_e32 v1, 0x7fffffff, v23
	v_mov_b32_e32 v2, 1
	v_mov_b32_e32 v4, 0
	;; [unrolled: 1-line block ×4, first 2 shown]
	s_mov_b64 s[2:3], 0
	s_mov_b32 s11, 0xe48e2825
	s_mov_b64 s[6:7], 1
	v_mov_b32_e32 v5, 0
	v_mov_b32_e32 v6, v0
	s_branch .LBB1_4
.LBB1_3:                                ;   in Loop: Header=BB1_4 Depth=1
	s_or_b64 exec, exec, s[8:9]
	s_add_u32 s8, s11, 1
	s_addc_u32 s9, s10, 0
	s_mul_i32 s7, s8, s7
	s_mul_hi_u32 s12, s8, s6
	s_add_i32 s7, s12, s7
	s_mul_i32 s9, s9, s6
	s_add_i32 s7, s7, s9
	s_mul_i32 s6, s8, s6
	s_mul_i32 s8, s11, s10
	s_mul_hi_u32 s9, s11, s11
	s_add_i32 s9, s9, s8
	v_cmp_gt_u64_e32 vcc, 2, v[6:7]
	s_add_i32 s10, s9, s8
	v_lshrrev_b64 v[6:7], 1, v[6:7]
	s_mul_i32 s11, s11, s11
	s_or_b64 s[2:3], vcc, s[2:3]
	s_andn2_b64 exec, exec, s[2:3]
	s_cbranch_execz .LBB1_6
.LBB1_4:                                ; =>This Inner Loop Header: Depth=1
	v_and_b32_e32 v1, 1, v6
	v_cmp_eq_u32_e32 vcc, 1, v1
	s_and_saveexec_b64 s[8:9], vcc
	s_cbranch_execz .LBB1_3
; %bb.5:                                ;   in Loop: Header=BB1_4 Depth=1
	v_mov_b32_e32 v9, s7
	v_mov_b32_e32 v8, s6
	v_mad_u64_u32 v[8:9], s[12:13], s11, v4, v[8:9]
	v_mul_lo_u32 v5, s11, v5
	v_mul_lo_u32 v4, s10, v4
	;; [unrolled: 1-line block ×4, first 2 shown]
	v_mad_u64_u32 v[2:3], s[12:13], s11, v2, 0
	v_add3_u32 v9, v4, v9, v5
	v_mov_b32_e32 v4, v8
	v_add3_u32 v3, v3, v10, v1
	v_mov_b32_e32 v5, v9
	s_branch .LBB1_3
.LBB1_6:
	s_or_b64 exec, exec, s[2:3]
	v_add_co_u32_e32 v1, vcc, v4, v2
	s_mov_b32 s2, 0x26f19d38
	v_addc_co_u32_e32 v2, vcc, v5, v3, vcc
	v_mul_lo_u32 v3, v1, s2
	s_mov_b32 s2, 0xe48e2825
	v_mul_lo_u32 v4, v2, s2
	v_mad_u64_u32 v[1:2], s[2:3], v1, s2, 1
	v_add3_u32 v2, v4, v2, v3
	v_and_b32_e32 v2, 0x7fffffff, v2
.LBB1_7:
	s_or_b64 exec, exec, s[0:1]
	s_load_dwordx2 s[2:3], s[4:5], 0x0
	s_mov_b32 s5, 0xe48e2825
	s_mov_b32 s6, 0x26f19d38
	v_cvt_f64_u32_e32 v[3:4], v2
	v_cvt_f64_u32_e32 v[5:6], v1
	v_mad_u64_u32 v[7:8], s[0:1], v1, s5, 1
	v_mul_lo_u32 v1, v1, s6
	v_mul_lo_u32 v2, v2, s5
	v_ldexp_f64 v[3:4], v[3:4], 32
	v_mul_lo_u32 v9, v7, s6
	s_movk_i32 s4, 0xffc1
	v_add3_u32 v8, v2, v8, v1
	v_and_b32_e32 v1, 0x7fffffff, v8
	v_cvt_f64_u32_e32 v[1:2], v1
	v_mul_lo_u32 v8, v8, s5
	v_mov_b32_e32 v26, 0x100
	v_add_f64 v[11:12], v[3:4], v[5:6]
	v_ldexp_f64 v[1:2], v[1:2], 32
	v_cvt_f64_u32_e32 v[5:6], v7
	s_mov_b32 s10, 0
	s_brev_b32 s11, 60
	s_mov_b32 s8, 0xd2f1a9fc
	s_mov_b32 s9, 0x3f50624d
	v_ldexp_f64 v[3:4], v[11:12], s4
	v_add_f64 v[13:14], v[1:2], v[5:6]
	v_mad_u64_u32 v[1:2], s[0:1], v7, s5, 0
	v_add3_u32 v2, v2, v9, v8
	v_add_co_u32_e32 v9, vcc, 1, v1
	v_addc_co_u32_e32 v7, vcc, 0, v2, vcc
	v_and_b32_e32 v7, 0x7fffffff, v7
	v_cvt_f64_u32_e32 v[7:8], v7
	v_cvt_f64_u32_e32 v[9:10], v9
	v_mul_lo_u32 v15, v2, s5
	v_mul_lo_u32 v16, v1, s6
	v_ldexp_f64 v[7:8], v[7:8], 32
	v_ldexp_f64 v[5:6], v[13:14], s4
	s_mov_b32 s6, 0
	s_brev_b32 s7, 8
	v_add_f64 v[7:8], v[7:8], v[9:10]
	v_mov_b32_e32 v9, 0xe48e2826
	v_mov_b32_e32 v10, 0x26f19d38
	v_mad_u64_u32 v[1:2], s[0:1], v1, s5, v[9:10]
	v_add3_u32 v2, v15, v2, v16
	v_and_b32_e32 v2, 0x7fffffff, v2
	v_cvt_f64_u32_e32 v[9:10], v2
	v_cvt_f64_u32_e32 v[1:2], v1
	v_ldexp_f64 v[7:8], v[7:8], s4
	v_ldexp_f64 v[9:10], v[9:10], 32
	v_add_f64 v[15:16], v[9:10], v[1:2]
	v_ldexp_f64 v[1:2], v[15:16], s4
	s_mov_b32 s4, -1
	s_mov_b32 s5, 0x7fefffff
	v_mul_f64 v[17:18], v[5:6], v[1:2]
	v_mul_f64 v[19:20], v[3:4], v[1:2]
	v_fma_f64 v[9:10], v[3:4], v[7:8], -v[17:18]
	v_fma_f64 v[19:20], v[5:6], v[7:8], v[19:20]
	v_and_b32_e32 v24, 0x7fffffff, v10
	v_cmp_gt_f64_e64 vcc, |v[9:10]|, |v[19:20]|
	v_and_b32_e32 v25, 0x7fffffff, v20
	v_cndmask_b32_e32 v22, v25, v24, vcc
	v_cndmask_b32_e32 v21, v19, v9, vcc
	;; [unrolled: 1-line block ×4, first 2 shown]
	v_div_scale_f64 v[24:25], s[0:1], v[21:22], v[21:22], v[27:28]
	v_add_f64 v[9:10], |v[9:10]|, |v[19:20]|
	v_rcp_f64_e32 v[29:30], v[24:25]
	v_fma_f64 v[31:32], -v[24:25], v[29:30], 1.0
	v_fma_f64 v[29:30], v[29:30], v[31:32], v[29:30]
	v_fma_f64 v[31:32], -v[24:25], v[29:30], 1.0
	v_fma_f64 v[29:30], v[29:30], v[31:32], v[29:30]
	v_div_scale_f64 v[31:32], vcc, v[27:28], v[21:22], v[27:28]
	v_mul_f64 v[33:34], v[31:32], v[29:30]
	v_fma_f64 v[24:25], -v[24:25], v[33:34], v[31:32]
	s_nop 1
	v_div_fmas_f64 v[24:25], v[24:25], v[29:30], v[33:34]
	v_div_fixup_f64 v[24:25], v[24:25], v[21:22], v[27:28]
	v_fma_f64 v[24:25], v[24:25], v[24:25], 1.0
	v_cmp_gt_f64_e32 vcc, s[6:7], v[24:25]
	v_cndmask_b32_e32 v29, 0, v26, vcc
	v_ldexp_f64 v[29:30], v[24:25], v29
	v_rsq_f64_e32 v[24:25], v[29:30]
	v_mul_f64 v[31:32], v[29:30], v[24:25]
	v_mul_f64 v[24:25], v[24:25], 0.5
	v_fma_f64 v[33:34], -v[24:25], v[31:32], 0.5
	v_fma_f64 v[31:32], v[31:32], v[33:34], v[31:32]
	v_fma_f64 v[24:25], v[24:25], v[33:34], v[24:25]
	v_fma_f64 v[35:36], -v[31:32], v[31:32], v[29:30]
	v_fma_f64 v[31:32], v[35:36], v[24:25], v[31:32]
	v_fma_f64 v[33:34], -v[31:32], v[31:32], v[29:30]
	v_fma_f64 v[31:32], v[33:34], v[24:25], v[31:32]
	v_mov_b32_e32 v24, 0xffffff80
	v_cndmask_b32_e32 v25, 0, v24, vcc
	v_ldexp_f64 v[31:32], v[31:32], v25
	v_mov_b32_e32 v25, 0x260
	v_cmp_class_f64_e32 vcc, v[29:30], v25
	v_cndmask_b32_e32 v30, v32, v30, vcc
	v_cndmask_b32_e32 v29, v31, v29, vcc
	v_mul_f64 v[29:30], v[21:22], v[29:30]
	v_cmp_eq_f64_e32 vcc, 0, v[21:22]
	v_max_f64 v[21:22], v[21:22], v[27:28]
	v_cmp_lt_f64_e64 s[0:1], s[4:5], v[21:22]
	s_or_b64 vcc, s[0:1], vcc
	v_cndmask_b32_e32 v20, v30, v10, vcc
	v_cndmask_b32_e32 v19, v29, v9, vcc
	v_cmp_gt_f64_e32 vcc, v[3:4], v[5:6]
	v_cndmask_b32_e32 v10, v6, v4, vcc
	v_cndmask_b32_e32 v9, v5, v3, vcc
	;; [unrolled: 1-line block ×4, first 2 shown]
	v_div_scale_f64 v[27:28], s[0:1], v[9:10], v[9:10], v[21:22]
	v_rcp_f64_e32 v[29:30], v[27:28]
	v_fma_f64 v[31:32], -v[27:28], v[29:30], 1.0
	v_fma_f64 v[29:30], v[29:30], v[31:32], v[29:30]
	v_fma_f64 v[31:32], -v[27:28], v[29:30], 1.0
	v_fma_f64 v[29:30], v[29:30], v[31:32], v[29:30]
	v_div_scale_f64 v[31:32], vcc, v[21:22], v[9:10], v[21:22]
	v_mul_f64 v[33:34], v[31:32], v[29:30]
	v_fma_f64 v[27:28], -v[27:28], v[33:34], v[31:32]
	s_nop 1
	v_div_fmas_f64 v[27:28], v[27:28], v[29:30], v[33:34]
	v_div_fixup_f64 v[27:28], v[27:28], v[9:10], v[21:22]
	v_fma_f64 v[27:28], v[27:28], v[27:28], 1.0
	v_cmp_gt_f64_e32 vcc, s[6:7], v[27:28]
	v_cndmask_b32_e32 v29, 0, v26, vcc
	v_ldexp_f64 v[27:28], v[27:28], v29
	v_rsq_f64_e32 v[29:30], v[27:28]
	v_mul_f64 v[31:32], v[27:28], v[29:30]
	v_mul_f64 v[29:30], v[29:30], 0.5
	v_fma_f64 v[33:34], -v[29:30], v[31:32], 0.5
	v_fma_f64 v[31:32], v[31:32], v[33:34], v[31:32]
	v_fma_f64 v[29:30], v[29:30], v[33:34], v[29:30]
	v_fma_f64 v[35:36], -v[31:32], v[31:32], v[27:28]
	v_fma_f64 v[31:32], v[35:36], v[29:30], v[31:32]
	v_fma_f64 v[33:34], -v[31:32], v[31:32], v[27:28]
	v_fma_f64 v[29:30], v[33:34], v[29:30], v[31:32]
	v_cndmask_b32_e32 v31, 0, v24, vcc
	v_cmp_class_f64_e32 vcc, v[27:28], v25
	v_ldexp_f64 v[29:30], v[29:30], v31
	v_cndmask_b32_e32 v28, v30, v28, vcc
	v_cndmask_b32_e32 v27, v29, v27, vcc
	v_mul_f64 v[27:28], v[9:10], v[27:28]
	v_cmp_eq_f64_e32 vcc, 0, v[9:10]
	v_max_f64 v[9:10], v[9:10], v[21:22]
	v_cmp_lt_f64_e64 s[0:1], s[4:5], v[9:10]
	v_fma_f64 v[9:10], v[13:14], s[10:11], v[3:4]
	s_or_b64 vcc, s[0:1], vcc
	v_cndmask_b32_e32 v22, v28, v10, vcc
	v_cndmask_b32_e32 v21, v27, v9, vcc
	v_cmp_gt_f64_e32 vcc, v[7:8], v[1:2]
	v_cndmask_b32_e32 v10, v2, v8, vcc
	v_cndmask_b32_e32 v9, v1, v7, vcc
	;; [unrolled: 1-line block ×4, first 2 shown]
	v_div_scale_f64 v[29:30], s[0:1], v[9:10], v[9:10], v[27:28]
	v_rcp_f64_e32 v[31:32], v[29:30]
	v_fma_f64 v[33:34], -v[29:30], v[31:32], 1.0
	v_fma_f64 v[31:32], v[31:32], v[33:34], v[31:32]
	v_fma_f64 v[33:34], -v[29:30], v[31:32], 1.0
	v_fma_f64 v[31:32], v[31:32], v[33:34], v[31:32]
	v_div_scale_f64 v[33:34], vcc, v[27:28], v[9:10], v[27:28]
	v_mul_f64 v[35:36], v[33:34], v[31:32]
	v_fma_f64 v[29:30], -v[29:30], v[35:36], v[33:34]
	s_nop 1
	v_div_fmas_f64 v[29:30], v[29:30], v[31:32], v[35:36]
	v_div_fixup_f64 v[29:30], v[29:30], v[9:10], v[27:28]
	v_fma_f64 v[29:30], v[29:30], v[29:30], 1.0
	v_cmp_gt_f64_e32 vcc, s[6:7], v[29:30]
	v_cndmask_b32_e32 v31, 0, v26, vcc
	v_ldexp_f64 v[29:30], v[29:30], v31
	v_rsq_f64_e32 v[31:32], v[29:30]
	v_mul_f64 v[33:34], v[29:30], v[31:32]
	v_mul_f64 v[31:32], v[31:32], 0.5
	v_fma_f64 v[35:36], -v[31:32], v[33:34], 0.5
	v_fma_f64 v[33:34], v[33:34], v[35:36], v[33:34]
	v_fma_f64 v[31:32], v[31:32], v[35:36], v[31:32]
	v_fma_f64 v[37:38], -v[33:34], v[33:34], v[29:30]
	v_fma_f64 v[33:34], v[37:38], v[31:32], v[33:34]
	v_fma_f64 v[35:36], -v[33:34], v[33:34], v[29:30]
	v_fma_f64 v[31:32], v[35:36], v[31:32], v[33:34]
	v_cndmask_b32_e32 v33, 0, v24, vcc
	v_cmp_class_f64_e32 vcc, v[29:30], v25
	v_ldexp_f64 v[31:32], v[31:32], v33
	v_cndmask_b32_e32 v30, v32, v30, vcc
	v_cndmask_b32_e32 v29, v31, v29, vcc
	v_mul_f64 v[29:30], v[9:10], v[29:30]
	v_cmp_eq_f64_e32 vcc, 0, v[9:10]
	v_max_f64 v[9:10], v[9:10], v[27:28]
	v_cmp_lt_f64_e64 s[0:1], s[4:5], v[9:10]
	v_fma_f64 v[9:10], v[15:16], s[10:11], v[7:8]
	v_fma_f64 v[15:16], v[15:16], s[10:11], -v[5:6]
	s_or_b64 vcc, s[0:1], vcc
	v_cndmask_b32_e32 v28, v30, v10, vcc
	v_cndmask_b32_e32 v27, v29, v9, vcc
	v_fma_f64 v[19:20], -v[21:22], v[27:28], v[19:20]
	v_fma_f64 v[21:22], v[13:14], s[10:11], v[1:2]
	v_cmp_lt_f64_e64 s[12:13], |v[19:20]|, s[8:9]
	v_fma_f64 v[19:20], v[11:12], s[10:11], v[7:8]
	v_and_b32_e32 v30, 0x7fffffff, v22
	v_fma_f64 v[11:12], v[11:12], s[10:11], -v[7:8]
	v_cmp_gt_f64_e64 vcc, |v[19:20]|, |v[21:22]|
	v_and_b32_e32 v29, 0x7fffffff, v20
	v_cndmask_b32_e32 v28, v30, v29, vcc
	v_cndmask_b32_e32 v27, v21, v19, vcc
	;; [unrolled: 1-line block ×4, first 2 shown]
	v_div_scale_f64 v[31:32], s[0:1], v[27:28], v[27:28], v[29:30]
	v_rcp_f64_e32 v[33:34], v[31:32]
	v_fma_f64 v[35:36], -v[31:32], v[33:34], 1.0
	v_fma_f64 v[33:34], v[33:34], v[35:36], v[33:34]
	v_fma_f64 v[35:36], -v[31:32], v[33:34], 1.0
	v_fma_f64 v[33:34], v[33:34], v[35:36], v[33:34]
	v_div_scale_f64 v[35:36], vcc, v[29:30], v[27:28], v[29:30]
	v_mul_f64 v[37:38], v[35:36], v[33:34]
	v_fma_f64 v[31:32], -v[31:32], v[37:38], v[35:36]
	s_nop 1
	v_div_fmas_f64 v[31:32], v[31:32], v[33:34], v[37:38]
	v_div_fixup_f64 v[31:32], v[31:32], v[27:28], v[29:30]
	v_fma_f64 v[31:32], v[31:32], v[31:32], 1.0
	v_cmp_gt_f64_e32 vcc, s[6:7], v[31:32]
	v_cndmask_b32_e32 v33, 0, v26, vcc
	v_ldexp_f64 v[31:32], v[31:32], v33
	v_rsq_f64_e32 v[33:34], v[31:32]
	v_mul_f64 v[35:36], v[31:32], v[33:34]
	v_mul_f64 v[33:34], v[33:34], 0.5
	v_fma_f64 v[37:38], -v[33:34], v[35:36], 0.5
	v_fma_f64 v[35:36], v[35:36], v[37:38], v[35:36]
	v_fma_f64 v[33:34], v[33:34], v[37:38], v[33:34]
	v_fma_f64 v[39:40], -v[35:36], v[35:36], v[31:32]
	v_fma_f64 v[35:36], v[39:40], v[33:34], v[35:36]
	v_fma_f64 v[37:38], -v[35:36], v[35:36], v[31:32]
	v_fma_f64 v[33:34], v[37:38], v[33:34], v[35:36]
	v_cndmask_b32_e32 v35, 0, v24, vcc
	v_cmp_class_f64_e32 vcc, v[31:32], v25
	v_ldexp_f64 v[33:34], v[33:34], v35
	v_cndmask_b32_e32 v32, v34, v32, vcc
	v_cndmask_b32_e32 v31, v33, v31, vcc
	v_mul_f64 v[31:32], v[27:28], v[31:32]
	v_cmp_eq_f64_e32 vcc, 0, v[27:28]
	v_max_f64 v[27:28], v[27:28], v[29:30]
	v_cmp_lt_f64_e64 s[0:1], s[4:5], v[27:28]
	v_add_f64 v[27:28], |v[19:20]|, |v[21:22]|
	v_mul_f64 v[19:20], v[19:20], v[19:20]
	s_or_b64 vcc, s[0:1], vcc
	s_mov_b32 s0, 0
	s_brev_b32 s1, 61
	v_fma_f64 v[29:30], v[13:14], s[0:1], -v[1:2]
	v_cndmask_b32_e32 v28, v32, v28, vcc
	v_cndmask_b32_e32 v27, v31, v27, vcc
	v_fma_f64 v[13:14], v[13:14], s[10:11], -v[1:2]
	v_fma_f64 v[19:20], v[21:22], v[29:30], -v[19:20]
	v_cmp_gt_f64_e64 vcc, |v[11:12]|, |v[13:14]|
	v_fma_f64 v[19:20], v[27:28], v[27:28], v[19:20]
	v_and_b32_e32 v27, 0x7fffffff, v12
	v_and_b32_e32 v28, 0x7fffffff, v14
	v_cndmask_b32_e32 v22, v28, v27, vcc
	v_cndmask_b32_e32 v21, v13, v11, vcc
	;; [unrolled: 1-line block ×4, first 2 shown]
	v_cmp_lt_f64_e64 s[0:1], |v[19:20]|, s[8:9]
	v_cndmask_b32_e64 v20, 0, 1, s[12:13]
	v_cndmask_b32_e64 v19, 0, 1, s[0:1]
	v_div_scale_f64 v[29:30], s[0:1], v[21:22], v[21:22], v[27:28]
	v_rcp_f64_e32 v[31:32], v[29:30]
	v_fma_f64 v[33:34], -v[29:30], v[31:32], 1.0
	v_fma_f64 v[31:32], v[31:32], v[33:34], v[31:32]
	v_fma_f64 v[33:34], -v[29:30], v[31:32], 1.0
	v_fma_f64 v[31:32], v[31:32], v[33:34], v[31:32]
	v_div_scale_f64 v[33:34], vcc, v[27:28], v[21:22], v[27:28]
	v_mul_f64 v[35:36], v[33:34], v[31:32]
	v_fma_f64 v[29:30], -v[29:30], v[35:36], v[33:34]
	s_nop 1
	v_div_fmas_f64 v[29:30], v[29:30], v[31:32], v[35:36]
	v_div_fixup_f64 v[29:30], v[29:30], v[21:22], v[27:28]
	v_fma_f64 v[29:30], v[29:30], v[29:30], 1.0
	v_cmp_gt_f64_e32 vcc, s[6:7], v[29:30]
	v_cndmask_b32_e32 v31, 0, v26, vcc
	v_ldexp_f64 v[29:30], v[29:30], v31
	v_rsq_f64_e32 v[31:32], v[29:30]
	v_mul_f64 v[33:34], v[29:30], v[31:32]
	v_mul_f64 v[31:32], v[31:32], 0.5
	v_fma_f64 v[35:36], -v[31:32], v[33:34], 0.5
	v_fma_f64 v[33:34], v[33:34], v[35:36], v[33:34]
	v_fma_f64 v[31:32], v[31:32], v[35:36], v[31:32]
	v_fma_f64 v[37:38], -v[33:34], v[33:34], v[29:30]
	v_fma_f64 v[33:34], v[37:38], v[31:32], v[33:34]
	v_fma_f64 v[35:36], -v[33:34], v[33:34], v[29:30]
	v_fma_f64 v[31:32], v[35:36], v[31:32], v[33:34]
	v_cndmask_b32_e32 v33, 0, v24, vcc
	v_cmp_class_f64_e32 vcc, v[29:30], v25
	v_ldexp_f64 v[31:32], v[31:32], v33
	v_cndmask_b32_e32 v30, v32, v30, vcc
	v_cndmask_b32_e32 v29, v31, v29, vcc
	v_mul_f64 v[29:30], v[21:22], v[29:30]
	v_cmp_eq_f64_e32 vcc, 0, v[21:22]
	v_max_f64 v[21:22], v[21:22], v[27:28]
	v_cmp_lt_f64_e64 s[0:1], s[4:5], v[21:22]
	v_add_f64 v[21:22], |v[11:12]|, |v[13:14]|
	v_mul_f64 v[11:12], v[11:12], v[11:12]
	s_or_b64 vcc, s[0:1], vcc
	v_cndmask_b32_e32 v22, v30, v22, vcc
	v_fma_f64 v[11:12], v[13:14], v[15:16], -v[11:12]
	v_cndmask_b32_e32 v21, v29, v21, vcc
	v_fma_f64 v[11:12], v[21:22], v[21:22], v[11:12]
	v_cmp_lt_f64_e64 s[0:1], |v[11:12]|, s[8:9]
	v_fma_f64 v[11:12], v[3:4], v[7:8], v[17:18]
	v_cndmask_b32_e64 v21, 0, 1, s[0:1]
	v_add_f64 v[13:14], v[11:12], v[11:12]
	v_fma_f64 v[11:12], v[11:12], -2.0, v[13:14]
	v_cmp_lt_f64_e64 s[0:1], |v[11:12]|, s[8:9]
	v_cndmask_b32_e64 v17, 0, 1, s[0:1]
	v_div_scale_f64 v[11:12], s[0:1], v[9:10], v[9:10], 1.0
	v_rcp_f64_e32 v[13:14], v[11:12]
	v_fma_f64 v[15:16], -v[11:12], v[13:14], 1.0
	v_fma_f64 v[13:14], v[13:14], v[15:16], v[13:14]
	v_fma_f64 v[15:16], -v[11:12], v[13:14], 1.0
	v_fma_f64 v[13:14], v[13:14], v[15:16], v[13:14]
	v_div_scale_f64 v[15:16], vcc, 1.0, v[9:10], 1.0
	v_mul_f64 v[27:28], v[15:16], v[13:14]
	v_fma_f64 v[11:12], -v[11:12], v[27:28], v[15:16]
	s_nop 1
	v_div_fmas_f64 v[11:12], v[11:12], v[13:14], v[27:28]
	v_div_fixup_f64 v[11:12], v[11:12], v[9:10], 1.0
	v_mul_f64 v[9:10], v[3:4], v[11:12]
	v_mul_f64 v[3:4], v[7:8], v[11:12]
	v_mul_f64 v[27:28], v[1:2], v[11:12]
	v_mul_f64 v[5:6], v[11:12], -v[5:6]
	v_mul_f64 v[11:12], v[11:12], -v[1:2]
	v_mul_f64 v[7:8], v[3:4], v[3:4]
	v_fma_f64 v[13:14], v[27:28], v[27:28], v[7:8]
	v_fma_f64 v[1:2], v[11:12], v[11:12], v[7:8]
	v_div_scale_f64 v[15:16], s[0:1], v[13:14], v[13:14], 1.0
	v_rcp_f64_e32 v[29:30], v[15:16]
	v_fma_f64 v[31:32], -v[15:16], v[29:30], 1.0
	v_fma_f64 v[29:30], v[29:30], v[31:32], v[29:30]
	v_fma_f64 v[31:32], -v[15:16], v[29:30], 1.0
	v_fma_f64 v[29:30], v[29:30], v[31:32], v[29:30]
	v_div_scale_f64 v[31:32], vcc, 1.0, v[13:14], 1.0
	v_mul_f64 v[33:34], v[31:32], v[29:30]
	v_fma_f64 v[15:16], -v[15:16], v[33:34], v[31:32]
	s_nop 1
	v_div_fmas_f64 v[15:16], v[15:16], v[29:30], v[33:34]
	v_div_fixup_f64 v[29:30], v[15:16], v[13:14], 1.0
	v_mul_f64 v[13:14], v[9:10], v[3:4]
	v_fma_f64 v[15:16], v[5:6], v[27:28], v[13:14]
	v_mul_f64 v[31:32], v[15:16], v[29:30]
	v_mul_f64 v[15:16], v[5:6], v[3:4]
	v_and_b32_e32 v18, 0x7fffffff, v32
	v_fma_f64 v[3:4], -v[9:10], v[27:28], v[15:16]
	v_mul_f64 v[3:4], v[3:4], v[29:30]
	v_cmp_gt_f64_e64 vcc, |v[31:32]|, |v[3:4]|
	v_and_b32_e32 v22, 0x7fffffff, v4
	v_cndmask_b32_e32 v28, v22, v18, vcc
	v_cndmask_b32_e32 v27, v3, v31, vcc
	v_cndmask_b32_e32 v30, v18, v22, vcc
	v_cndmask_b32_e32 v29, v31, v3, vcc
	v_div_scale_f64 v[33:34], s[0:1], v[27:28], v[27:28], v[29:30]
	v_add_f64 v[3:4], |v[31:32]|, |v[3:4]|
	v_rcp_f64_e32 v[35:36], v[33:34]
	v_fma_f64 v[37:38], -v[33:34], v[35:36], 1.0
	v_fma_f64 v[35:36], v[35:36], v[37:38], v[35:36]
	v_fma_f64 v[37:38], -v[33:34], v[35:36], 1.0
	v_fma_f64 v[35:36], v[35:36], v[37:38], v[35:36]
	v_div_scale_f64 v[37:38], vcc, v[29:30], v[27:28], v[29:30]
	v_mul_f64 v[39:40], v[37:38], v[35:36]
	v_fma_f64 v[33:34], -v[33:34], v[39:40], v[37:38]
	s_nop 1
	v_div_fmas_f64 v[33:34], v[33:34], v[35:36], v[39:40]
	v_div_fixup_f64 v[33:34], v[33:34], v[27:28], v[29:30]
	v_fma_f64 v[33:34], v[33:34], v[33:34], 1.0
	v_cmp_gt_f64_e32 vcc, s[6:7], v[33:34]
	v_cndmask_b32_e32 v18, 0, v26, vcc
	v_ldexp_f64 v[33:34], v[33:34], v18
	v_cndmask_b32_e32 v18, 0, v24, vcc
	v_rsq_f64_e32 v[35:36], v[33:34]
	v_cmp_class_f64_e32 vcc, v[33:34], v25
	v_mul_f64 v[37:38], v[33:34], v[35:36]
	v_mul_f64 v[35:36], v[35:36], 0.5
	v_fma_f64 v[39:40], -v[35:36], v[37:38], 0.5
	v_fma_f64 v[37:38], v[37:38], v[39:40], v[37:38]
	v_fma_f64 v[35:36], v[35:36], v[39:40], v[35:36]
	v_fma_f64 v[41:42], -v[37:38], v[37:38], v[33:34]
	v_fma_f64 v[37:38], v[41:42], v[35:36], v[37:38]
	v_fma_f64 v[39:40], -v[37:38], v[37:38], v[33:34]
	v_fma_f64 v[35:36], v[39:40], v[35:36], v[37:38]
	v_ldexp_f64 v[35:36], v[35:36], v18
	v_cndmask_b32_e32 v34, v36, v34, vcc
	v_cndmask_b32_e32 v33, v35, v33, vcc
	v_mul_f64 v[33:34], v[27:28], v[33:34]
	v_cmp_eq_f64_e32 vcc, 0, v[27:28]
	v_max_f64 v[27:28], v[27:28], v[29:30]
	v_cmp_lt_f64_e64 s[0:1], s[4:5], v[27:28]
	s_or_b64 vcc, s[0:1], vcc
	v_div_scale_f64 v[7:8], s[0:1], v[1:2], v[1:2], 1.0
	v_cndmask_b32_e32 v4, v34, v4, vcc
	v_cndmask_b32_e32 v3, v33, v3, vcc
	v_rcp_f64_e32 v[27:28], v[7:8]
	v_fma_f64 v[29:30], -v[7:8], v[27:28], 1.0
	v_fma_f64 v[27:28], v[27:28], v[29:30], v[27:28]
	v_fma_f64 v[29:30], -v[7:8], v[27:28], 1.0
	v_fma_f64 v[27:28], v[27:28], v[29:30], v[27:28]
	v_div_scale_f64 v[29:30], vcc, 1.0, v[1:2], 1.0
	v_mul_f64 v[31:32], v[29:30], v[27:28]
	v_fma_f64 v[7:8], -v[7:8], v[31:32], v[29:30]
	s_nop 1
	v_div_fmas_f64 v[7:8], v[7:8], v[27:28], v[31:32]
	v_div_fixup_f64 v[7:8], v[7:8], v[1:2], 1.0
	v_fma_f64 v[1:2], v[5:6], v[11:12], v[13:14]
	v_fma_f64 v[5:6], -v[9:10], v[11:12], v[15:16]
	v_mul_f64 v[1:2], v[1:2], v[7:8]
	v_mul_f64 v[5:6], v[5:6], v[7:8]
	v_and_b32_e32 v9, 0x7fffffff, v2
	v_cmp_gt_f64_e64 vcc, |v[1:2]|, |v[5:6]|
	v_and_b32_e32 v10, 0x7fffffff, v6
	v_cndmask_b32_e32 v8, v10, v9, vcc
	v_cndmask_b32_e32 v7, v5, v1, vcc
	;; [unrolled: 1-line block ×4, first 2 shown]
	v_div_scale_f64 v[11:12], s[0:1], v[7:8], v[7:8], v[9:10]
	v_add_f64 v[1:2], |v[1:2]|, |v[5:6]|
	v_rcp_f64_e32 v[13:14], v[11:12]
	v_fma_f64 v[15:16], -v[11:12], v[13:14], 1.0
	v_fma_f64 v[13:14], v[13:14], v[15:16], v[13:14]
	v_fma_f64 v[15:16], -v[11:12], v[13:14], 1.0
	v_fma_f64 v[13:14], v[13:14], v[15:16], v[13:14]
	v_div_scale_f64 v[15:16], vcc, v[9:10], v[7:8], v[9:10]
	v_mul_f64 v[27:28], v[15:16], v[13:14]
	v_fma_f64 v[11:12], -v[11:12], v[27:28], v[15:16]
	s_nop 1
	v_div_fmas_f64 v[11:12], v[11:12], v[13:14], v[27:28]
	v_div_fixup_f64 v[11:12], v[11:12], v[7:8], v[9:10]
	v_fma_f64 v[11:12], v[11:12], v[11:12], 1.0
	v_cmp_gt_f64_e32 vcc, s[6:7], v[11:12]
	v_cndmask_b32_e32 v13, 0, v26, vcc
	v_ldexp_f64 v[11:12], v[11:12], v13
	v_rsq_f64_e32 v[13:14], v[11:12]
	v_mul_f64 v[15:16], v[11:12], v[13:14]
	v_mul_f64 v[13:14], v[13:14], 0.5
	v_fma_f64 v[26:27], -v[13:14], v[15:16], 0.5
	v_fma_f64 v[15:16], v[15:16], v[26:27], v[15:16]
	v_fma_f64 v[13:14], v[13:14], v[26:27], v[13:14]
	v_fma_f64 v[28:29], -v[15:16], v[15:16], v[11:12]
	v_fma_f64 v[15:16], v[28:29], v[13:14], v[15:16]
	v_fma_f64 v[26:27], -v[15:16], v[15:16], v[11:12]
	v_fma_f64 v[13:14], v[26:27], v[13:14], v[15:16]
	v_cndmask_b32_e32 v15, 0, v24, vcc
	v_cmp_class_f64_e32 vcc, v[11:12], v25
	v_ldexp_f64 v[13:14], v[13:14], v15
	v_cndmask_b32_e32 v12, v14, v12, vcc
	v_cndmask_b32_e32 v11, v13, v11, vcc
	v_mul_f64 v[11:12], v[7:8], v[11:12]
	v_cmp_eq_f64_e32 vcc, 0, v[7:8]
	v_max_f64 v[7:8], v[7:8], v[9:10]
	v_cmp_lt_f64_e64 s[0:1], s[4:5], v[7:8]
	s_or_b64 vcc, s[0:1], vcc
	v_cndmask_b32_e32 v2, v12, v2, vcc
	v_cndmask_b32_e32 v1, v11, v1, vcc
	v_add_f64 v[1:2], v[3:4], -v[1:2]
	s_waitcnt lgkmcnt(0)
	v_add_co_u32_e32 v0, vcc, s2, v0
	v_cmp_lt_f64_e64 s[0:1], |v[1:2]|, s[8:9]
	v_add_u16_e32 v2, v19, v17
	v_add_u16_e32 v2, v2, v20
	;; [unrolled: 1-line block ×3, first 2 shown]
	v_cndmask_b32_e64 v1, 0, 1, s[0:1]
	v_add_u16_e32 v2, v2, v1
	v_mov_b32_e32 v1, s3
	v_addc_co_u32_e32 v1, vcc, v1, v23, vcc
	global_store_byte v[0:1], v2, off
.LBB1_8:
	s_endpgm
	.section	.rodata,"a",@progbits
	.p2align	6, 0x0
	.amdhsa_kernel _Z14complex_doublePci
		.amdhsa_group_segment_fixed_size 0
		.amdhsa_private_segment_fixed_size 0
		.amdhsa_kernarg_size 272
		.amdhsa_user_sgpr_count 6
		.amdhsa_user_sgpr_private_segment_buffer 1
		.amdhsa_user_sgpr_dispatch_ptr 0
		.amdhsa_user_sgpr_queue_ptr 0
		.amdhsa_user_sgpr_kernarg_segment_ptr 1
		.amdhsa_user_sgpr_dispatch_id 0
		.amdhsa_user_sgpr_flat_scratch_init 0
		.amdhsa_user_sgpr_private_segment_size 0
		.amdhsa_uses_dynamic_stack 0
		.amdhsa_system_sgpr_private_segment_wavefront_offset 0
		.amdhsa_system_sgpr_workgroup_id_x 1
		.amdhsa_system_sgpr_workgroup_id_y 0
		.amdhsa_system_sgpr_workgroup_id_z 0
		.amdhsa_system_sgpr_workgroup_info 0
		.amdhsa_system_vgpr_workitem_id 0
		.amdhsa_next_free_vgpr 43
		.amdhsa_next_free_sgpr 14
		.amdhsa_reserve_vcc 1
		.amdhsa_reserve_flat_scratch 0
		.amdhsa_float_round_mode_32 0
		.amdhsa_float_round_mode_16_64 0
		.amdhsa_float_denorm_mode_32 3
		.amdhsa_float_denorm_mode_16_64 3
		.amdhsa_dx10_clamp 1
		.amdhsa_ieee_mode 1
		.amdhsa_fp16_overflow 0
		.amdhsa_exception_fp_ieee_invalid_op 0
		.amdhsa_exception_fp_denorm_src 0
		.amdhsa_exception_fp_ieee_div_zero 0
		.amdhsa_exception_fp_ieee_overflow 0
		.amdhsa_exception_fp_ieee_underflow 0
		.amdhsa_exception_fp_ieee_inexact 0
		.amdhsa_exception_int_div_zero 0
	.end_amdhsa_kernel
	.text
.Lfunc_end1:
	.size	_Z14complex_doublePci, .Lfunc_end1-_Z14complex_doublePci
                                        ; -- End function
	.set _Z14complex_doublePci.num_vgpr, 43
	.set _Z14complex_doublePci.num_agpr, 0
	.set _Z14complex_doublePci.numbered_sgpr, 14
	.set _Z14complex_doublePci.num_named_barrier, 0
	.set _Z14complex_doublePci.private_seg_size, 0
	.set _Z14complex_doublePci.uses_vcc, 1
	.set _Z14complex_doublePci.uses_flat_scratch, 0
	.set _Z14complex_doublePci.has_dyn_sized_stack, 0
	.set _Z14complex_doublePci.has_recursion, 0
	.set _Z14complex_doublePci.has_indirect_call, 0
	.section	.AMDGPU.csdata,"",@progbits
; Kernel info:
; codeLenInByte = 3528
; TotalNumSgprs: 18
; NumVgprs: 43
; ScratchSize: 0
; MemoryBound: 0
; FloatMode: 240
; IeeeMode: 1
; LDSByteSize: 0 bytes/workgroup (compile time only)
; SGPRBlocks: 2
; VGPRBlocks: 10
; NumSGPRsForWavesPerEU: 18
; NumVGPRsForWavesPerEU: 43
; Occupancy: 5
; WaveLimiterHint : 0
; COMPUTE_PGM_RSRC2:SCRATCH_EN: 0
; COMPUTE_PGM_RSRC2:USER_SGPR: 6
; COMPUTE_PGM_RSRC2:TRAP_HANDLER: 0
; COMPUTE_PGM_RSRC2:TGID_X_EN: 1
; COMPUTE_PGM_RSRC2:TGID_Y_EN: 0
; COMPUTE_PGM_RSRC2:TGID_Z_EN: 0
; COMPUTE_PGM_RSRC2:TIDIG_COMP_CNT: 0
	.text
	.protected	_Z17ref_complex_floatPci ; -- Begin function _Z17ref_complex_floatPci
	.globl	_Z17ref_complex_floatPci
	.p2align	8
	.type	_Z17ref_complex_floatPci,@function
_Z17ref_complex_floatPci:               ; @_Z17ref_complex_floatPci
; %bb.0:
	s_load_dword s0, s[4:5], 0x1c
	s_load_dword s1, s[4:5], 0x8
	s_waitcnt lgkmcnt(0)
	s_and_b32 s0, s0, 0xffff
	s_mul_i32 s6, s6, s0
	v_add_u32_e32 v0, s6, v0
	v_cmp_gt_i32_e32 vcc, s1, v0
	s_and_saveexec_b64 s[0:1], vcc
	s_cbranch_execz .LBB2_8
; %bb.1:
	v_ashrrev_i32_e32 v8, 31, v0
	v_cmp_ne_u32_e32 vcc, 0, v0
	s_mov_b32 s10, 0x26f19d38
	v_mov_b32_e32 v1, 0xe48e2826
	v_mov_b32_e32 v2, 0x26f19d38
	s_and_saveexec_b64 s[0:1], vcc
	s_cbranch_execz .LBB2_7
; %bb.2:
	v_and_b32_e32 v1, 0x7fffffff, v8
	v_mov_b32_e32 v2, 1
	v_mov_b32_e32 v4, 0
	;; [unrolled: 1-line block ×4, first 2 shown]
	s_mov_b64 s[2:3], 0
	s_mov_b32 s11, 0xe48e2825
	s_mov_b64 s[6:7], 1
	v_mov_b32_e32 v5, 0
	v_mov_b32_e32 v6, v0
	s_branch .LBB2_4
.LBB2_3:                                ;   in Loop: Header=BB2_4 Depth=1
	s_or_b64 exec, exec, s[8:9]
	s_add_u32 s8, s11, 1
	s_addc_u32 s9, s10, 0
	s_mul_i32 s7, s8, s7
	s_mul_hi_u32 s12, s8, s6
	s_add_i32 s7, s12, s7
	s_mul_i32 s9, s9, s6
	s_add_i32 s7, s7, s9
	s_mul_i32 s6, s8, s6
	s_mul_i32 s8, s11, s10
	s_mul_hi_u32 s9, s11, s11
	s_add_i32 s9, s9, s8
	v_cmp_gt_u64_e32 vcc, 2, v[6:7]
	s_add_i32 s10, s9, s8
	v_lshrrev_b64 v[6:7], 1, v[6:7]
	s_mul_i32 s11, s11, s11
	s_or_b64 s[2:3], vcc, s[2:3]
	s_andn2_b64 exec, exec, s[2:3]
	s_cbranch_execz .LBB2_6
.LBB2_4:                                ; =>This Inner Loop Header: Depth=1
	v_and_b32_e32 v1, 1, v6
	v_cmp_eq_u32_e32 vcc, 1, v1
	s_and_saveexec_b64 s[8:9], vcc
	s_cbranch_execz .LBB2_3
; %bb.5:                                ;   in Loop: Header=BB2_4 Depth=1
	v_mov_b32_e32 v10, s7
	v_mov_b32_e32 v9, s6
	v_mad_u64_u32 v[9:10], s[12:13], s11, v4, v[9:10]
	v_mul_lo_u32 v5, s11, v5
	v_mul_lo_u32 v4, s10, v4
	;; [unrolled: 1-line block ×4, first 2 shown]
	v_mad_u64_u32 v[2:3], s[12:13], s11, v2, 0
	v_add3_u32 v10, v4, v10, v5
	v_mov_b32_e32 v4, v9
	v_add3_u32 v3, v3, v11, v1
	v_mov_b32_e32 v5, v10
	s_branch .LBB2_3
.LBB2_6:
	s_or_b64 exec, exec, s[2:3]
	v_add_co_u32_e32 v1, vcc, v4, v2
	s_mov_b32 s2, 0x26f19d38
	v_addc_co_u32_e32 v2, vcc, v5, v3, vcc
	v_mul_lo_u32 v3, v1, s2
	s_mov_b32 s2, 0xe48e2825
	v_mul_lo_u32 v4, v2, s2
	v_mad_u64_u32 v[1:2], s[2:3], v1, s2, 1
	v_add3_u32 v2, v4, v2, v3
	v_and_b32_e32 v2, 0x7fffffff, v2
.LBB2_7:
	s_or_b64 exec, exec, s[0:1]
	s_mov_b32 s2, 0xe48e2825
	s_mov_b32 s3, 0x26f19d38
	v_mad_u64_u32 v[3:4], s[0:1], v1, s2, 1
	v_mul_lo_u32 v5, v1, s3
	v_mul_lo_u32 v6, v2, s2
	;; [unrolled: 1-line block ×3, first 2 shown]
	v_cvt_f64_u32_e32 v[18:19], v3
	s_mov_b32 s6, 0xf800000
	v_add3_u32 v9, v6, v4, v5
	v_mul_lo_u32 v11, v9, s2
	v_mad_u64_u32 v[4:5], s[0:1], v3, s2, 0
	v_cvt_f64_u32_e32 v[6:7], v2
	v_and_b32_e32 v2, 0x7fffffff, v9
	v_add3_u32 v5, v5, v10, v11
	v_mov_b32_e32 v9, 0xe48e2826
	v_mov_b32_e32 v10, 0x26f19d38
	v_mul_lo_u32 v11, v5, s2
	v_mul_lo_u32 v12, v4, s3
	v_mad_u64_u32 v[9:10], s[0:1], v4, s2, v[9:10]
	v_add_co_u32_e32 v14, vcc, 1, v4
	v_addc_co_u32_e32 v4, vcc, 0, v5, vcc
	v_add3_u32 v10, v11, v10, v12
	v_and_b32_e32 v4, 0x7fffffff, v4
	v_and_b32_e32 v10, 0x7fffffff, v10
	v_cvt_f64_u32_e32 v[4:5], v4
	v_cvt_f64_u32_e32 v[10:11], v10
	;; [unrolled: 1-line block ×3, first 2 shown]
	v_ldexp_f64 v[6:7], v[6:7], 32
	v_ldexp_f64 v[4:5], v[4:5], 32
	;; [unrolled: 1-line block ×4, first 2 shown]
	v_cvt_f64_u32_e32 v[1:2], v1
	v_cvt_f64_u32_e32 v[14:15], v14
	v_cvt_f64_u32_e32 v[16:17], v9
	s_movk_i32 s0, 0xffc1
	v_add_f64 v[1:2], v[6:7], v[1:2]
	v_add_f64 v[3:4], v[4:5], v[14:15]
	;; [unrolled: 1-line block ×4, first 2 shown]
	v_ldexp_f64 v[1:2], v[1:2], s0
	v_ldexp_f64 v[3:4], v[3:4], s0
	;; [unrolled: 1-line block ×4, first 2 shown]
	v_cvt_f32_f64_e32 v10, v[1:2]
	v_cvt_f32_f64_e32 v3, v[3:4]
	;; [unrolled: 1-line block ×4, first 2 shown]
	v_mul_f32_e32 v1, v10, v3
	v_mul_f32_e32 v7, v10, v9
	v_fma_f32 v2, v4, v3, v7
	v_mul_f32_e32 v2, v2, v2
	v_fma_f32 v5, -v4, v9, v1
	v_fmac_f32_e32 v2, v5, v5
	v_mul_f32_e32 v6, 0x4f800000, v2
	v_cmp_gt_f32_e32 vcc, s6, v2
	v_cndmask_b32_e32 v6, v2, v6, vcc
	v_sqrt_f32_e32 v2, v6
	v_fmac_f32_e32 v1, v4, v9
	v_add_u32_e32 v11, -1, v2
	v_fma_f32 v12, -v11, v2, v6
	v_cmp_ge_f32_e64 s[0:1], 0, v12
	v_add_u32_e32 v12, 1, v2
	v_cndmask_b32_e64 v11, v2, v11, s[0:1]
	v_fma_f32 v2, -v12, v2, v6
	v_cmp_lt_f32_e64 s[0:1], 0, v2
	v_cndmask_b32_e64 v2, v11, v12, s[0:1]
	v_mul_f32_e32 v11, 0x37800000, v2
	v_cndmask_b32_e32 v11, v2, v11, vcc
	v_mul_f32_e32 v2, v4, v4
	v_fmac_f32_e32 v2, v10, v10
	v_mul_f32_e32 v12, 0x4f800000, v2
	v_cmp_gt_f32_e32 vcc, s6, v2
	v_cndmask_b32_e32 v12, v2, v12, vcc
	v_sqrt_f32_e32 v13, v12
	v_mov_b32_e32 v2, 0x260
	v_cmp_class_f32_e64 s[0:1], v6, v2
	v_cndmask_b32_e64 v11, v11, v6, s[0:1]
	v_add_u32_e32 v6, -1, v13
	v_fma_f32 v14, -v6, v13, v12
	v_cmp_ge_f32_e64 s[0:1], 0, v14
	v_add_u32_e32 v14, 1, v13
	v_cndmask_b32_e64 v6, v13, v6, s[0:1]
	v_fma_f32 v13, -v14, v13, v12
	v_cmp_lt_f32_e64 s[0:1], 0, v13
	v_cndmask_b32_e64 v13, v6, v14, s[0:1]
	v_mul_f32_e32 v6, v9, v9
	v_fmac_f32_e32 v6, v3, v3
	v_mul_f32_e32 v15, 0x4f800000, v6
	v_cmp_gt_f32_e64 s[0:1], s6, v6
	v_cndmask_b32_e64 v15, v6, v15, s[0:1]
	v_sqrt_f32_e32 v16, v15
	v_mul_f32_e32 v14, 0x37800000, v13
	v_cndmask_b32_e32 v13, v13, v14, vcc
	v_cmp_class_f32_e32 vcc, v12, v2
	v_cndmask_b32_e32 v12, v13, v12, vcc
	v_add_u32_e32 v13, -1, v16
	v_fma_f32 v14, -v13, v16, v15
	v_cmp_ge_f32_e32 vcc, 0, v14
	v_add_u32_e32 v14, 1, v16
	v_cndmask_b32_e32 v13, v16, v13, vcc
	v_fma_f32 v16, -v14, v16, v15
	v_cmp_lt_f32_e32 vcc, 0, v16
	v_cndmask_b32_e32 v13, v13, v14, vcc
	v_mul_f32_e32 v14, 0x37800000, v13
	v_cndmask_b32_e64 v13, v13, v14, s[0:1]
	v_div_scale_f32 v16, s[0:1], v6, v6, v5
	v_cmp_class_f32_e32 vcc, v15, v2
	v_add_f32_e32 v14, v10, v3
	v_cndmask_b32_e32 v13, v13, v15, vcc
	v_add_f32_e32 v15, v4, v9
	v_mul_f32_e32 v14, v14, v14
	v_fma_f32 v17, v15, v15, v14
	v_mul_f32_e32 v18, 0x4f800000, v17
	v_cmp_gt_f32_e64 s[0:1], s6, v17
	v_cndmask_b32_e64 v17, v17, v18, s[0:1]
	v_sqrt_f32_e32 v18, v17
	v_fma_f32 v11, -v12, v13, v11
	v_sub_f32_e32 v10, v10, v3
	v_mul_f32_e32 v10, v10, v10
	v_add_u32_e32 v12, -1, v18
	v_fma_f32 v13, -v12, v18, v17
	v_cmp_ge_f32_e32 vcc, 0, v13
	v_sub_f32_e64 v13, -v9, v4
	v_fma_f32 v13, v15, v13, -v14
	v_rcp_f32_e32 v14, v16
	v_add_u32_e32 v15, 1, v18
	v_cndmask_b32_e32 v12, v18, v12, vcc
	v_fma_f32 v18, -v15, v18, v17
	v_cmp_lt_f32_e64 s[2:3], 0, v18
	v_fma_f32 v18, -v16, v14, 1.0
	v_fmac_f32_e32 v14, v18, v14
	v_div_scale_f32 v18, vcc, v5, v6, v5
	v_cndmask_b32_e64 v12, v12, v15, s[2:3]
	v_mul_f32_e32 v15, 0x37800000, v12
	v_cndmask_b32_e64 v12, v12, v15, s[0:1]
	v_cmp_class_f32_e64 s[0:1], v17, v2
	v_cndmask_b32_e64 v12, v12, v17, s[0:1]
	v_fmac_f32_e32 v13, v12, v12
	s_load_dwordx2 s[2:3], s[4:5], 0x0
	s_mov_b32 s4, 0x3a83126f
	v_mul_f32_e32 v19, v18, v14
	v_fma_f32 v20, -v16, v19, v18
	v_fmac_f32_e32 v19, v20, v14
	v_fma_f32 v16, -v16, v19, v18
	v_div_fmas_f32 v14, v16, v14, v19
	v_fma_f32 v16, -v4, v3, -v7
	v_div_scale_f32 v18, s[8:9], v6, v6, v16
	v_div_scale_f32 v15, vcc, v16, v6, v16
	v_fma_f32 v3, -v4, v3, v7
	v_div_fixup_f32 v5, v14, v6, v5
	v_rcp_f32_e32 v17, v18
	v_fma_f32 v12, -v18, v17, 1.0
	v_fmac_f32_e32 v17, v12, v17
	v_mul_f32_e32 v12, v15, v17
	v_fma_f32 v19, -v18, v12, v15
	v_fmac_f32_e32 v12, v19, v17
	v_fma_f32 v15, -v18, v12, v15
	v_sub_f32_e32 v18, v4, v9
	v_div_fmas_f32 v12, v15, v17, v12
	v_fma_f32 v15, v18, v18, v10
	v_mul_f32_e32 v17, 0x4f800000, v15
	v_cmp_gt_f32_e32 vcc, s6, v15
	v_cndmask_b32_e32 v15, v15, v17, vcc
	v_sqrt_f32_e32 v17, v15
	v_sub_f32_e32 v9, v9, v4
	v_fma_f32 v9, v18, v9, -v10
	v_add_u32_e32 v19, -1, v17
	v_fma_f32 v20, -v19, v17, v15
	v_cmp_ge_f32_e64 s[0:1], 0, v20
	v_add_u32_e32 v20, 1, v17
	v_cndmask_b32_e64 v19, v17, v19, s[0:1]
	v_fma_f32 v17, -v20, v17, v15
	v_cmp_lt_f32_e64 s[0:1], 0, v17
	v_cndmask_b32_e64 v17, v19, v20, s[0:1]
	v_mul_f32_e32 v19, 0x37800000, v17
	v_cmp_lt_f32_e64 s[0:1], |v13|, s4
	v_cndmask_b32_e32 v17, v17, v19, vcc
	v_cndmask_b32_e64 v13, 0, 1, s[0:1]
	v_cmp_lt_f32_e64 s[0:1], |v11|, s4
	v_cmp_class_f32_e32 vcc, v15, v2
	v_cndmask_b32_e64 v11, 0, 1, s[0:1]
	v_cndmask_b32_e32 v15, v17, v15, vcc
	v_div_scale_f32 v17, s[0:1], v6, v6, v1
	v_div_scale_f32 v10, vcc, v1, v6, v1
	v_div_scale_f32 v4, s[0:1], v6, v6, v3
	v_fmac_f32_e32 v9, v15, v15
	v_cmp_lt_f32_e64 s[0:1], |v9|, s4
	v_cndmask_b32_e64 v7, 0, 1, s[0:1]
	v_div_scale_f32 v14, s[0:1], v3, v6, v3
	v_div_fixup_f32 v12, v12, v6, v16
	v_mul_f32_e32 v12, v12, v12
	v_fmac_f32_e32 v12, v5, v5
	v_mul_f32_e32 v5, 0x4f800000, v12
	v_add_f32_e32 v9, v1, v1
	v_rcp_f32_e32 v15, v17
	v_fmac_f32_e32 v9, -2.0, v1
	v_fma_f32 v16, -v17, v15, 1.0
	v_fmac_f32_e32 v15, v16, v15
	v_mul_f32_e32 v16, v10, v15
	v_fma_f32 v18, -v17, v16, v10
	v_fmac_f32_e32 v16, v18, v15
	v_rcp_f32_e32 v18, v4
	v_fma_f32 v10, -v17, v16, v10
	v_div_fmas_f32 v10, v10, v15, v16
	s_mov_b64 vcc, s[0:1]
	v_fma_f32 v15, -v4, v18, 1.0
	v_fmac_f32_e32 v18, v15, v18
	v_mul_f32_e32 v15, v14, v18
	v_fma_f32 v16, -v4, v15, v14
	v_fmac_f32_e32 v15, v16, v18
	v_fma_f32 v4, -v4, v15, v14
	v_div_fmas_f32 v4, v4, v18, v15
	v_cmp_gt_f32_e32 vcc, s6, v12
	v_cndmask_b32_e32 v5, v12, v5, vcc
	v_sqrt_f32_e32 v12, v5
	v_cmp_lt_f32_e64 s[0:1], |v9|, s4
	v_cndmask_b32_e64 v9, 0, 1, s[0:1]
	v_add_u32_e32 v14, -1, v12
	v_fma_f32 v15, -v14, v12, v5
	v_cmp_ge_f32_e64 s[0:1], 0, v15
	v_add_u32_e32 v15, 1, v12
	v_cndmask_b32_e64 v14, v12, v14, s[0:1]
	v_fma_f32 v12, -v15, v12, v5
	v_div_fixup_f32 v1, v10, v6, v1
	v_cmp_lt_f32_e64 s[0:1], 0, v12
	v_cndmask_b32_e64 v12, v14, v15, s[0:1]
	v_div_fixup_f32 v3, v4, v6, v3
	v_mul_f32_e32 v3, v3, v3
	v_fmac_f32_e32 v3, v1, v1
	v_mul_f32_e32 v1, 0x4f800000, v3
	v_cmp_gt_f32_e64 s[0:1], s6, v3
	v_cndmask_b32_e64 v1, v3, v1, s[0:1]
	v_sqrt_f32_e32 v3, v1
	v_mul_f32_e32 v14, 0x37800000, v12
	v_cndmask_b32_e32 v4, v12, v14, vcc
	v_cmp_class_f32_e32 vcc, v5, v2
	v_cndmask_b32_e32 v4, v4, v5, vcc
	v_add_u32_e32 v5, -1, v3
	v_fma_f32 v6, -v5, v3, v1
	v_cmp_ge_f32_e32 vcc, 0, v6
	v_add_u32_e32 v6, 1, v3
	v_cndmask_b32_e32 v5, v3, v5, vcc
	v_fma_f32 v3, -v6, v3, v1
	v_cmp_lt_f32_e32 vcc, 0, v3
	v_cndmask_b32_e32 v3, v5, v6, vcc
	v_mul_f32_e32 v5, 0x37800000, v3
	v_cndmask_b32_e64 v3, v3, v5, s[0:1]
	v_cmp_class_f32_e32 vcc, v1, v2
	v_cndmask_b32_e32 v1, v3, v1, vcc
	v_sub_f32_e32 v1, v4, v1
	v_add_u16_e32 v2, v13, v9
	v_cmp_lt_f32_e64 s[0:1], |v1|, s4
	v_add_u16_e32 v2, v2, v11
	v_cndmask_b32_e64 v1, 0, 1, s[0:1]
	v_add_u16_e32 v2, v2, v7
	v_add_u16_e32 v2, v2, v1
	s_waitcnt lgkmcnt(0)
	v_mov_b32_e32 v1, s3
	v_add_co_u32_e32 v0, vcc, s2, v0
	v_addc_co_u32_e32 v1, vcc, v1, v8, vcc
	global_store_byte v[0:1], v2, off
.LBB2_8:
	s_endpgm
	.section	.rodata,"a",@progbits
	.p2align	6, 0x0
	.amdhsa_kernel _Z17ref_complex_floatPci
		.amdhsa_group_segment_fixed_size 0
		.amdhsa_private_segment_fixed_size 0
		.amdhsa_kernarg_size 272
		.amdhsa_user_sgpr_count 6
		.amdhsa_user_sgpr_private_segment_buffer 1
		.amdhsa_user_sgpr_dispatch_ptr 0
		.amdhsa_user_sgpr_queue_ptr 0
		.amdhsa_user_sgpr_kernarg_segment_ptr 1
		.amdhsa_user_sgpr_dispatch_id 0
		.amdhsa_user_sgpr_flat_scratch_init 0
		.amdhsa_user_sgpr_private_segment_size 0
		.amdhsa_uses_dynamic_stack 0
		.amdhsa_system_sgpr_private_segment_wavefront_offset 0
		.amdhsa_system_sgpr_workgroup_id_x 1
		.amdhsa_system_sgpr_workgroup_id_y 0
		.amdhsa_system_sgpr_workgroup_id_z 0
		.amdhsa_system_sgpr_workgroup_info 0
		.amdhsa_system_vgpr_workitem_id 0
		.amdhsa_next_free_vgpr 21
		.amdhsa_next_free_sgpr 14
		.amdhsa_reserve_vcc 1
		.amdhsa_reserve_flat_scratch 0
		.amdhsa_float_round_mode_32 0
		.amdhsa_float_round_mode_16_64 0
		.amdhsa_float_denorm_mode_32 3
		.amdhsa_float_denorm_mode_16_64 3
		.amdhsa_dx10_clamp 1
		.amdhsa_ieee_mode 1
		.amdhsa_fp16_overflow 0
		.amdhsa_exception_fp_ieee_invalid_op 0
		.amdhsa_exception_fp_denorm_src 0
		.amdhsa_exception_fp_ieee_div_zero 0
		.amdhsa_exception_fp_ieee_overflow 0
		.amdhsa_exception_fp_ieee_underflow 0
		.amdhsa_exception_fp_ieee_inexact 0
		.amdhsa_exception_int_div_zero 0
	.end_amdhsa_kernel
	.text
.Lfunc_end2:
	.size	_Z17ref_complex_floatPci, .Lfunc_end2-_Z17ref_complex_floatPci
                                        ; -- End function
	.set _Z17ref_complex_floatPci.num_vgpr, 21
	.set _Z17ref_complex_floatPci.num_agpr, 0
	.set _Z17ref_complex_floatPci.numbered_sgpr, 14
	.set _Z17ref_complex_floatPci.num_named_barrier, 0
	.set _Z17ref_complex_floatPci.private_seg_size, 0
	.set _Z17ref_complex_floatPci.uses_vcc, 1
	.set _Z17ref_complex_floatPci.uses_flat_scratch, 0
	.set _Z17ref_complex_floatPci.has_dyn_sized_stack, 0
	.set _Z17ref_complex_floatPci.has_recursion, 0
	.set _Z17ref_complex_floatPci.has_indirect_call, 0
	.section	.AMDGPU.csdata,"",@progbits
; Kernel info:
; codeLenInByte = 2012
; TotalNumSgprs: 18
; NumVgprs: 21
; ScratchSize: 0
; MemoryBound: 0
; FloatMode: 240
; IeeeMode: 1
; LDSByteSize: 0 bytes/workgroup (compile time only)
; SGPRBlocks: 2
; VGPRBlocks: 5
; NumSGPRsForWavesPerEU: 18
; NumVGPRsForWavesPerEU: 21
; Occupancy: 10
; WaveLimiterHint : 0
; COMPUTE_PGM_RSRC2:SCRATCH_EN: 0
; COMPUTE_PGM_RSRC2:USER_SGPR: 6
; COMPUTE_PGM_RSRC2:TRAP_HANDLER: 0
; COMPUTE_PGM_RSRC2:TGID_X_EN: 1
; COMPUTE_PGM_RSRC2:TGID_Y_EN: 0
; COMPUTE_PGM_RSRC2:TGID_Z_EN: 0
; COMPUTE_PGM_RSRC2:TIDIG_COMP_CNT: 0
	.text
	.protected	_Z18ref_complex_doublePci ; -- Begin function _Z18ref_complex_doublePci
	.globl	_Z18ref_complex_doublePci
	.p2align	8
	.type	_Z18ref_complex_doublePci,@function
_Z18ref_complex_doublePci:              ; @_Z18ref_complex_doublePci
; %bb.0:
	s_load_dword s0, s[4:5], 0x1c
	s_load_dword s1, s[4:5], 0x8
	s_waitcnt lgkmcnt(0)
	s_and_b32 s0, s0, 0xffff
	s_mul_i32 s6, s6, s0
	v_add_u32_e32 v0, s6, v0
	v_cmp_gt_i32_e32 vcc, s1, v0
	s_and_saveexec_b64 s[0:1], vcc
	s_cbranch_execz .LBB3_8
; %bb.1:
	v_ashrrev_i32_e32 v23, 31, v0
	v_cmp_ne_u32_e32 vcc, 0, v0
	s_mov_b32 s10, 0x26f19d38
	v_mov_b32_e32 v1, 0xe48e2826
	v_mov_b32_e32 v2, 0x26f19d38
	s_and_saveexec_b64 s[0:1], vcc
	s_cbranch_execz .LBB3_7
; %bb.2:
	v_and_b32_e32 v1, 0x7fffffff, v23
	v_mov_b32_e32 v2, 1
	v_mov_b32_e32 v4, 0
	;; [unrolled: 1-line block ×4, first 2 shown]
	s_mov_b64 s[2:3], 0
	s_mov_b32 s11, 0xe48e2825
	s_mov_b64 s[6:7], 1
	v_mov_b32_e32 v5, 0
	v_mov_b32_e32 v6, v0
	s_branch .LBB3_4
.LBB3_3:                                ;   in Loop: Header=BB3_4 Depth=1
	s_or_b64 exec, exec, s[8:9]
	s_add_u32 s8, s11, 1
	s_addc_u32 s9, s10, 0
	s_mul_i32 s7, s8, s7
	s_mul_hi_u32 s12, s8, s6
	s_add_i32 s7, s12, s7
	s_mul_i32 s9, s9, s6
	s_add_i32 s7, s7, s9
	s_mul_i32 s6, s8, s6
	s_mul_i32 s8, s11, s10
	s_mul_hi_u32 s9, s11, s11
	s_add_i32 s9, s9, s8
	v_cmp_gt_u64_e32 vcc, 2, v[6:7]
	s_add_i32 s10, s9, s8
	v_lshrrev_b64 v[6:7], 1, v[6:7]
	s_mul_i32 s11, s11, s11
	s_or_b64 s[2:3], vcc, s[2:3]
	s_andn2_b64 exec, exec, s[2:3]
	s_cbranch_execz .LBB3_6
.LBB3_4:                                ; =>This Inner Loop Header: Depth=1
	v_and_b32_e32 v1, 1, v6
	v_cmp_eq_u32_e32 vcc, 1, v1
	s_and_saveexec_b64 s[8:9], vcc
	s_cbranch_execz .LBB3_3
; %bb.5:                                ;   in Loop: Header=BB3_4 Depth=1
	v_mov_b32_e32 v9, s7
	v_mov_b32_e32 v8, s6
	v_mad_u64_u32 v[8:9], s[12:13], s11, v4, v[8:9]
	v_mul_lo_u32 v5, s11, v5
	v_mul_lo_u32 v4, s10, v4
	;; [unrolled: 1-line block ×4, first 2 shown]
	v_mad_u64_u32 v[2:3], s[12:13], s11, v2, 0
	v_add3_u32 v9, v4, v9, v5
	v_mov_b32_e32 v4, v8
	v_add3_u32 v3, v3, v10, v1
	v_mov_b32_e32 v5, v9
	s_branch .LBB3_3
.LBB3_6:
	s_or_b64 exec, exec, s[2:3]
	v_add_co_u32_e32 v1, vcc, v4, v2
	s_mov_b32 s2, 0x26f19d38
	v_addc_co_u32_e32 v2, vcc, v5, v3, vcc
	v_mul_lo_u32 v3, v1, s2
	s_mov_b32 s2, 0xe48e2825
	v_mul_lo_u32 v4, v2, s2
	v_mad_u64_u32 v[1:2], s[2:3], v1, s2, 1
	v_add3_u32 v2, v4, v2, v3
	v_and_b32_e32 v2, 0x7fffffff, v2
.LBB3_7:
	s_or_b64 exec, exec, s[0:1]
	v_cvt_f64_u32_e32 v[3:4], v2
	v_cvt_f64_u32_e32 v[5:6], v1
	s_load_dwordx2 s[0:1], s[4:5], 0x0
	s_mov_b32 s5, 0xe48e2825
	v_ldexp_f64 v[3:4], v[3:4], 32
	s_mov_b32 s6, 0x26f19d38
	v_mul_lo_u32 v2, v2, s5
	s_movk_i32 s4, 0xffc1
	v_mov_b32_e32 v26, 0x100
	s_mov_b32 s8, 0
	s_brev_b32 s9, 60
	s_mov_b32 s10, 0
	v_add_f64 v[11:12], v[3:4], v[5:6]
	v_mad_u64_u32 v[3:4], s[2:3], v1, s5, 1
	v_mul_lo_u32 v1, v1, s6
	s_brev_b32 s11, 61
	v_add3_u32 v6, v2, v4, v1
	v_and_b32_e32 v1, 0x7fffffff, v6
	v_cvt_f64_u32_e32 v[1:2], v1
	v_cvt_f64_u32_e32 v[4:5], v3
	v_mul_lo_u32 v7, v6, s5
	v_ldexp_f64 v[9:10], v[11:12], s4
	v_ldexp_f64 v[1:2], v[1:2], 32
	v_add_f64 v[13:14], v[1:2], v[4:5]
	v_mul_lo_u32 v4, v3, s6
	v_mad_u64_u32 v[5:6], s[2:3], v3, s5, 0
	v_add3_u32 v8, v6, v4, v7
	v_add_co_u32_e32 v6, vcc, 1, v5
	v_addc_co_u32_e32 v3, vcc, 0, v8, vcc
	v_and_b32_e32 v3, 0x7fffffff, v3
	v_cvt_f64_u32_e32 v[3:4], v3
	v_cvt_f64_u32_e32 v[6:7], v6
	v_mul_lo_u32 v8, v8, s5
	v_mul_lo_u32 v15, v5, s6
	v_ldexp_f64 v[3:4], v[3:4], 32
	v_ldexp_f64 v[1:2], v[13:14], s4
	v_add_f64 v[3:4], v[3:4], v[6:7]
	v_mov_b32_e32 v6, 0xe48e2826
	v_mov_b32_e32 v7, 0x26f19d38
	v_mad_u64_u32 v[5:6], s[2:3], v5, s5, v[6:7]
	s_mov_b32 s2, 0
	s_brev_b32 s3, 8
	v_add3_u32 v6, v8, v6, v15
	v_and_b32_e32 v6, 0x7fffffff, v6
	v_cvt_f64_u32_e32 v[6:7], v6
	v_cvt_f64_u32_e32 v[15:16], v5
	v_ldexp_f64 v[3:4], v[3:4], s4
	v_ldexp_f64 v[6:7], v[6:7], 32
	v_mul_f64 v[17:18], v[9:10], v[3:4]
	v_add_f64 v[19:20], v[6:7], v[15:16]
	v_ldexp_f64 v[15:16], v[19:20], s4
	s_mov_b32 s4, 0xd2f1a9fc
	s_mov_b32 s5, 0x3f50624d
	v_fma_f64 v[19:20], v[19:20], s[8:9], -v[1:2]
	v_mul_f64 v[5:6], v[9:10], v[15:16]
	v_fma_f64 v[7:8], -v[1:2], v[15:16], v[17:18]
	v_fma_f64 v[21:22], v[1:2], v[3:4], v[5:6]
	v_mul_f64 v[21:22], v[21:22], v[21:22]
	v_fma_f64 v[21:22], v[7:8], v[7:8], v[21:22]
	v_cmp_gt_f64_e32 vcc, s[2:3], v[21:22]
	v_cndmask_b32_e32 v24, 0, v26, vcc
	v_ldexp_f64 v[21:22], v[21:22], v24
	v_rsq_f64_e32 v[24:25], v[21:22]
	v_mul_f64 v[27:28], v[21:22], v[24:25]
	v_mul_f64 v[24:25], v[24:25], 0.5
	v_fma_f64 v[29:30], -v[24:25], v[27:28], 0.5
	v_fma_f64 v[27:28], v[27:28], v[29:30], v[27:28]
	v_fma_f64 v[24:25], v[24:25], v[29:30], v[24:25]
	v_fma_f64 v[31:32], -v[27:28], v[27:28], v[21:22]
	v_fma_f64 v[27:28], v[31:32], v[24:25], v[27:28]
	v_fma_f64 v[29:30], -v[27:28], v[27:28], v[21:22]
	v_fma_f64 v[27:28], v[29:30], v[24:25], v[27:28]
	v_mov_b32_e32 v25, 0xffffff80
	v_cndmask_b32_e32 v24, 0, v25, vcc
	v_ldexp_f64 v[27:28], v[27:28], v24
	v_mov_b32_e32 v24, 0x260
	v_cmp_class_f64_e32 vcc, v[21:22], v24
	v_cndmask_b32_e32 v22, v28, v22, vcc
	v_cndmask_b32_e32 v21, v27, v21, vcc
	v_mul_f64 v[27:28], v[1:2], v[1:2]
	v_fma_f64 v[9:10], v[9:10], v[9:10], v[27:28]
	v_cmp_gt_f64_e32 vcc, s[2:3], v[9:10]
	v_cndmask_b32_e32 v27, 0, v26, vcc
	v_ldexp_f64 v[9:10], v[9:10], v27
	v_rsq_f64_e32 v[27:28], v[9:10]
	v_mul_f64 v[29:30], v[9:10], v[27:28]
	v_mul_f64 v[27:28], v[27:28], 0.5
	v_fma_f64 v[31:32], -v[27:28], v[29:30], 0.5
	v_fma_f64 v[29:30], v[29:30], v[31:32], v[29:30]
	v_fma_f64 v[27:28], v[27:28], v[31:32], v[27:28]
	v_fma_f64 v[33:34], -v[29:30], v[29:30], v[9:10]
	v_fma_f64 v[29:30], v[33:34], v[27:28], v[29:30]
	v_fma_f64 v[31:32], -v[29:30], v[29:30], v[9:10]
	v_fma_f64 v[27:28], v[31:32], v[27:28], v[29:30]
	v_cndmask_b32_e32 v29, 0, v25, vcc
	v_cmp_class_f64_e32 vcc, v[9:10], v24
	v_ldexp_f64 v[27:28], v[27:28], v29
	v_cndmask_b32_e32 v28, v28, v10, vcc
	v_cndmask_b32_e32 v27, v27, v9, vcc
	v_mul_f64 v[9:10], v[15:16], v[15:16]
	v_fma_f64 v[9:10], v[3:4], v[3:4], v[9:10]
	v_cmp_gt_f64_e32 vcc, s[2:3], v[9:10]
	v_cndmask_b32_e32 v29, 0, v26, vcc
	v_ldexp_f64 v[29:30], v[9:10], v29
	v_rsq_f64_e32 v[31:32], v[29:30]
	v_mul_f64 v[33:34], v[29:30], v[31:32]
	v_mul_f64 v[31:32], v[31:32], 0.5
	v_fma_f64 v[35:36], -v[31:32], v[33:34], 0.5
	v_fma_f64 v[33:34], v[33:34], v[35:36], v[33:34]
	v_fma_f64 v[31:32], v[31:32], v[35:36], v[31:32]
	v_fma_f64 v[37:38], -v[33:34], v[33:34], v[29:30]
	v_fma_f64 v[33:34], v[37:38], v[31:32], v[33:34]
	v_fma_f64 v[35:36], -v[33:34], v[33:34], v[29:30]
	v_fma_f64 v[31:32], v[35:36], v[31:32], v[33:34]
	v_cndmask_b32_e32 v33, 0, v25, vcc
	v_cmp_class_f64_e32 vcc, v[29:30], v24
	v_ldexp_f64 v[31:32], v[31:32], v33
	v_cndmask_b32_e32 v30, v32, v30, vcc
	v_cndmask_b32_e32 v29, v31, v29, vcc
	v_fma_f64 v[21:22], -v[27:28], v[29:30], v[21:22]
	v_fma_f64 v[27:28], v[13:14], s[8:9], v[15:16]
	v_cmp_lt_f64_e64 s[6:7], |v[21:22]|, s[4:5]
	v_fma_f64 v[21:22], v[11:12], s[8:9], v[3:4]
	v_fma_f64 v[11:12], v[11:12], s[8:9], -v[3:4]
	v_mul_f64 v[21:22], v[21:22], v[21:22]
	v_mul_f64 v[11:12], v[11:12], v[11:12]
	v_fma_f64 v[29:30], v[27:28], v[27:28], v[21:22]
	v_cmp_gt_f64_e32 vcc, s[2:3], v[29:30]
	v_cndmask_b32_e32 v31, 0, v26, vcc
	v_ldexp_f64 v[29:30], v[29:30], v31
	v_rsq_f64_e32 v[31:32], v[29:30]
	v_mul_f64 v[33:34], v[29:30], v[31:32]
	v_mul_f64 v[31:32], v[31:32], 0.5
	v_fma_f64 v[35:36], -v[31:32], v[33:34], 0.5
	v_fma_f64 v[33:34], v[33:34], v[35:36], v[33:34]
	v_fma_f64 v[31:32], v[31:32], v[35:36], v[31:32]
	v_fma_f64 v[37:38], -v[33:34], v[33:34], v[29:30]
	v_fma_f64 v[33:34], v[37:38], v[31:32], v[33:34]
	v_fma_f64 v[35:36], -v[33:34], v[33:34], v[29:30]
	v_fma_f64 v[31:32], v[35:36], v[31:32], v[33:34]
	v_cndmask_b32_e32 v33, 0, v25, vcc
	v_cmp_class_f64_e32 vcc, v[29:30], v24
	v_ldexp_f64 v[31:32], v[31:32], v33
	v_cndmask_b32_e32 v30, v32, v30, vcc
	v_cndmask_b32_e32 v29, v31, v29, vcc
	v_fma_f64 v[31:32], v[13:14], s[10:11], -v[15:16]
	v_fma_f64 v[13:14], v[13:14], s[8:9], -v[15:16]
	;; [unrolled: 1-line block ×3, first 2 shown]
	v_fma_f64 v[27:28], v[13:14], v[13:14], v[11:12]
	v_fma_f64 v[11:12], v[13:14], v[19:20], -v[11:12]
	v_fma_f64 v[21:22], v[29:30], v[29:30], v[21:22]
	v_cmp_gt_f64_e32 vcc, s[2:3], v[27:28]
	v_cmp_lt_f64_e64 s[10:11], |v[21:22]|, s[4:5]
	v_cndmask_b32_e32 v29, 0, v26, vcc
	v_ldexp_f64 v[27:28], v[27:28], v29
	v_cndmask_b32_e64 v22, 0, 1, s[6:7]
	v_cndmask_b32_e64 v21, 0, 1, s[10:11]
	v_rsq_f64_e32 v[29:30], v[27:28]
	v_mul_f64 v[31:32], v[27:28], v[29:30]
	v_mul_f64 v[29:30], v[29:30], 0.5
	v_fma_f64 v[33:34], -v[29:30], v[31:32], 0.5
	v_fma_f64 v[31:32], v[31:32], v[33:34], v[31:32]
	v_fma_f64 v[29:30], v[29:30], v[33:34], v[29:30]
	v_fma_f64 v[35:36], -v[31:32], v[31:32], v[27:28]
	v_fma_f64 v[31:32], v[35:36], v[29:30], v[31:32]
	v_fma_f64 v[33:34], -v[31:32], v[31:32], v[27:28]
	v_fma_f64 v[29:30], v[33:34], v[29:30], v[31:32]
	v_cndmask_b32_e32 v31, 0, v25, vcc
	v_cmp_class_f64_e32 vcc, v[27:28], v24
	v_ldexp_f64 v[29:30], v[29:30], v31
	v_cndmask_b32_e32 v28, v30, v28, vcc
	v_cndmask_b32_e32 v27, v29, v27, vcc
	v_fma_f64 v[11:12], v[27:28], v[27:28], v[11:12]
	v_cmp_lt_f64_e64 s[6:7], |v[11:12]|, s[4:5]
	v_fma_f64 v[11:12], v[1:2], v[15:16], v[17:18]
	v_cndmask_b32_e64 v13, 0, 1, s[6:7]
	v_add_f64 v[14:15], v[11:12], v[11:12]
	v_fma_f64 v[14:15], v[11:12], -2.0, v[14:15]
	v_cmp_lt_f64_e64 s[6:7], |v[14:15]|, s[4:5]
	v_cndmask_b32_e64 v14, 0, 1, s[6:7]
	v_div_scale_f64 v[15:16], s[6:7], v[9:10], v[9:10], v[7:8]
	v_rcp_f64_e32 v[17:18], v[15:16]
	v_fma_f64 v[19:20], -v[15:16], v[17:18], 1.0
	v_fma_f64 v[17:18], v[17:18], v[19:20], v[17:18]
	v_fma_f64 v[19:20], -v[15:16], v[17:18], 1.0
	v_fma_f64 v[17:18], v[17:18], v[19:20], v[17:18]
	v_div_scale_f64 v[19:20], vcc, v[7:8], v[9:10], v[7:8]
	v_mul_f64 v[27:28], v[19:20], v[17:18]
	v_fma_f64 v[15:16], -v[15:16], v[27:28], v[19:20]
	s_nop 1
	v_div_fmas_f64 v[15:16], v[15:16], v[17:18], v[27:28]
	v_div_fixup_f64 v[7:8], v[15:16], v[9:10], v[7:8]
	v_fma_f64 v[15:16], v[3:4], -v[1:2], -v[5:6]
	v_fma_f64 v[1:2], -v[1:2], v[3:4], v[5:6]
	v_div_scale_f64 v[17:18], s[6:7], v[9:10], v[9:10], v[15:16]
	v_div_scale_f64 v[3:4], s[6:7], v[9:10], v[9:10], v[1:2]
	v_rcp_f64_e32 v[19:20], v[17:18]
	v_rcp_f64_e32 v[5:6], v[3:4]
	v_fma_f64 v[27:28], -v[17:18], v[19:20], 1.0
	v_fma_f64 v[19:20], v[19:20], v[27:28], v[19:20]
	v_fma_f64 v[27:28], -v[17:18], v[19:20], 1.0
	v_fma_f64 v[19:20], v[19:20], v[27:28], v[19:20]
	v_div_scale_f64 v[27:28], vcc, v[15:16], v[9:10], v[15:16]
	v_mul_f64 v[29:30], v[27:28], v[19:20]
	v_fma_f64 v[17:18], -v[17:18], v[29:30], v[27:28]
	s_nop 1
	v_div_fmas_f64 v[17:18], v[17:18], v[19:20], v[29:30]
	v_div_fixup_f64 v[15:16], v[17:18], v[9:10], v[15:16]
	v_mul_f64 v[15:16], v[15:16], v[15:16]
	v_fma_f64 v[7:8], v[7:8], v[7:8], v[15:16]
	v_cmp_gt_f64_e32 vcc, s[2:3], v[7:8]
	v_cndmask_b32_e32 v15, 0, v26, vcc
	v_ldexp_f64 v[7:8], v[7:8], v15
	v_rsq_f64_e32 v[15:16], v[7:8]
	v_mul_f64 v[17:18], v[7:8], v[15:16]
	v_mul_f64 v[15:16], v[15:16], 0.5
	v_fma_f64 v[19:20], -v[15:16], v[17:18], 0.5
	v_fma_f64 v[17:18], v[17:18], v[19:20], v[17:18]
	v_fma_f64 v[15:16], v[15:16], v[19:20], v[15:16]
	v_fma_f64 v[27:28], -v[17:18], v[17:18], v[7:8]
	v_fma_f64 v[17:18], v[27:28], v[15:16], v[17:18]
	v_fma_f64 v[19:20], -v[17:18], v[17:18], v[7:8]
	v_fma_f64 v[15:16], v[19:20], v[15:16], v[17:18]
	v_cndmask_b32_e32 v17, 0, v25, vcc
	v_cmp_class_f64_e32 vcc, v[7:8], v24
	v_ldexp_f64 v[15:16], v[15:16], v17
	v_cndmask_b32_e32 v8, v16, v8, vcc
	v_cndmask_b32_e32 v7, v15, v7, vcc
	v_div_scale_f64 v[15:16], s[6:7], v[9:10], v[9:10], v[11:12]
	v_rcp_f64_e32 v[17:18], v[15:16]
	v_fma_f64 v[19:20], -v[15:16], v[17:18], 1.0
	v_fma_f64 v[17:18], v[17:18], v[19:20], v[17:18]
	v_fma_f64 v[19:20], -v[15:16], v[17:18], 1.0
	v_fma_f64 v[17:18], v[17:18], v[19:20], v[17:18]
	v_div_scale_f64 v[19:20], vcc, v[11:12], v[9:10], v[11:12]
	v_mul_f64 v[27:28], v[19:20], v[17:18]
	v_fma_f64 v[15:16], -v[15:16], v[27:28], v[19:20]
	s_nop 1
	v_div_fmas_f64 v[15:16], v[15:16], v[17:18], v[27:28]
	v_div_fixup_f64 v[11:12], v[15:16], v[9:10], v[11:12]
	v_fma_f64 v[15:16], -v[3:4], v[5:6], 1.0
	v_fma_f64 v[5:6], v[5:6], v[15:16], v[5:6]
	v_fma_f64 v[15:16], -v[3:4], v[5:6], 1.0
	v_fma_f64 v[5:6], v[5:6], v[15:16], v[5:6]
	v_div_scale_f64 v[15:16], vcc, v[1:2], v[9:10], v[1:2]
	v_mul_f64 v[17:18], v[15:16], v[5:6]
	v_fma_f64 v[3:4], -v[3:4], v[17:18], v[15:16]
	s_nop 1
	v_div_fmas_f64 v[3:4], v[3:4], v[5:6], v[17:18]
	v_div_fixup_f64 v[1:2], v[3:4], v[9:10], v[1:2]
	v_mul_f64 v[1:2], v[1:2], v[1:2]
	v_fma_f64 v[1:2], v[11:12], v[11:12], v[1:2]
	v_cmp_gt_f64_e32 vcc, s[2:3], v[1:2]
	v_cndmask_b32_e32 v3, 0, v26, vcc
	v_ldexp_f64 v[1:2], v[1:2], v3
	v_rsq_f64_e32 v[3:4], v[1:2]
	v_mul_f64 v[5:6], v[1:2], v[3:4]
	v_mul_f64 v[3:4], v[3:4], 0.5
	v_fma_f64 v[9:10], -v[3:4], v[5:6], 0.5
	v_fma_f64 v[5:6], v[5:6], v[9:10], v[5:6]
	v_fma_f64 v[3:4], v[3:4], v[9:10], v[3:4]
	v_fma_f64 v[11:12], -v[5:6], v[5:6], v[1:2]
	v_fma_f64 v[5:6], v[11:12], v[3:4], v[5:6]
	v_fma_f64 v[9:10], -v[5:6], v[5:6], v[1:2]
	v_fma_f64 v[3:4], v[9:10], v[3:4], v[5:6]
	v_cndmask_b32_e32 v5, 0, v25, vcc
	v_cmp_class_f64_e32 vcc, v[1:2], v24
	v_ldexp_f64 v[3:4], v[3:4], v5
	v_cndmask_b32_e32 v2, v4, v2, vcc
	v_cndmask_b32_e32 v1, v3, v1, vcc
	v_add_f64 v[1:2], v[7:8], -v[1:2]
	s_waitcnt lgkmcnt(0)
	v_add_co_u32_e32 v0, vcc, s0, v0
	v_cmp_lt_f64_e64 s[2:3], |v[1:2]|, s[4:5]
	v_add_u16_e32 v2, v21, v14
	v_add_u16_e32 v2, v2, v22
	;; [unrolled: 1-line block ×3, first 2 shown]
	v_cndmask_b32_e64 v1, 0, 1, s[2:3]
	v_add_u16_e32 v2, v2, v1
	v_mov_b32_e32 v1, s1
	v_addc_co_u32_e32 v1, vcc, v1, v23, vcc
	global_store_byte v[0:1], v2, off
.LBB3_8:
	s_endpgm
	.section	.rodata,"a",@progbits
	.p2align	6, 0x0
	.amdhsa_kernel _Z18ref_complex_doublePci
		.amdhsa_group_segment_fixed_size 0
		.amdhsa_private_segment_fixed_size 0
		.amdhsa_kernarg_size 272
		.amdhsa_user_sgpr_count 6
		.amdhsa_user_sgpr_private_segment_buffer 1
		.amdhsa_user_sgpr_dispatch_ptr 0
		.amdhsa_user_sgpr_queue_ptr 0
		.amdhsa_user_sgpr_kernarg_segment_ptr 1
		.amdhsa_user_sgpr_dispatch_id 0
		.amdhsa_user_sgpr_flat_scratch_init 0
		.amdhsa_user_sgpr_private_segment_size 0
		.amdhsa_uses_dynamic_stack 0
		.amdhsa_system_sgpr_private_segment_wavefront_offset 0
		.amdhsa_system_sgpr_workgroup_id_x 1
		.amdhsa_system_sgpr_workgroup_id_y 0
		.amdhsa_system_sgpr_workgroup_id_z 0
		.amdhsa_system_sgpr_workgroup_info 0
		.amdhsa_system_vgpr_workitem_id 0
		.amdhsa_next_free_vgpr 39
		.amdhsa_next_free_sgpr 14
		.amdhsa_reserve_vcc 1
		.amdhsa_reserve_flat_scratch 0
		.amdhsa_float_round_mode_32 0
		.amdhsa_float_round_mode_16_64 0
		.amdhsa_float_denorm_mode_32 3
		.amdhsa_float_denorm_mode_16_64 3
		.amdhsa_dx10_clamp 1
		.amdhsa_ieee_mode 1
		.amdhsa_fp16_overflow 0
		.amdhsa_exception_fp_ieee_invalid_op 0
		.amdhsa_exception_fp_denorm_src 0
		.amdhsa_exception_fp_ieee_div_zero 0
		.amdhsa_exception_fp_ieee_overflow 0
		.amdhsa_exception_fp_ieee_underflow 0
		.amdhsa_exception_fp_ieee_inexact 0
		.amdhsa_exception_int_div_zero 0
	.end_amdhsa_kernel
	.text
.Lfunc_end3:
	.size	_Z18ref_complex_doublePci, .Lfunc_end3-_Z18ref_complex_doublePci
                                        ; -- End function
	.set _Z18ref_complex_doublePci.num_vgpr, 39
	.set _Z18ref_complex_doublePci.num_agpr, 0
	.set _Z18ref_complex_doublePci.numbered_sgpr, 14
	.set _Z18ref_complex_doublePci.num_named_barrier, 0
	.set _Z18ref_complex_doublePci.private_seg_size, 0
	.set _Z18ref_complex_doublePci.uses_vcc, 1
	.set _Z18ref_complex_doublePci.uses_flat_scratch, 0
	.set _Z18ref_complex_doublePci.has_dyn_sized_stack, 0
	.set _Z18ref_complex_doublePci.has_recursion, 0
	.set _Z18ref_complex_doublePci.has_indirect_call, 0
	.section	.AMDGPU.csdata,"",@progbits
; Kernel info:
; codeLenInByte = 2324
; TotalNumSgprs: 18
; NumVgprs: 39
; ScratchSize: 0
; MemoryBound: 0
; FloatMode: 240
; IeeeMode: 1
; LDSByteSize: 0 bytes/workgroup (compile time only)
; SGPRBlocks: 2
; VGPRBlocks: 9
; NumSGPRsForWavesPerEU: 18
; NumVGPRsForWavesPerEU: 39
; Occupancy: 6
; WaveLimiterHint : 0
; COMPUTE_PGM_RSRC2:SCRATCH_EN: 0
; COMPUTE_PGM_RSRC2:USER_SGPR: 6
; COMPUTE_PGM_RSRC2:TRAP_HANDLER: 0
; COMPUTE_PGM_RSRC2:TGID_X_EN: 1
; COMPUTE_PGM_RSRC2:TGID_Y_EN: 0
; COMPUTE_PGM_RSRC2:TGID_Z_EN: 0
; COMPUTE_PGM_RSRC2:TIDIG_COMP_CNT: 0
	.section	.AMDGPU.gpr_maximums,"",@progbits
	.set amdgpu.max_num_vgpr, 0
	.set amdgpu.max_num_agpr, 0
	.set amdgpu.max_num_sgpr, 0
	.section	.AMDGPU.csdata,"",@progbits
	.type	__hip_cuid_9f46d607d0191180,@object ; @__hip_cuid_9f46d607d0191180
	.section	.bss,"aw",@nobits
	.globl	__hip_cuid_9f46d607d0191180
__hip_cuid_9f46d607d0191180:
	.byte	0                               ; 0x0
	.size	__hip_cuid_9f46d607d0191180, 1

	.ident	"AMD clang version 22.0.0git (https://github.com/RadeonOpenCompute/llvm-project roc-7.2.4 26084 f58b06dce1f9c15707c5f808fd002e18c2accf7e)"
	.section	".note.GNU-stack","",@progbits
	.addrsig
	.addrsig_sym __hip_cuid_9f46d607d0191180
	.amdgpu_metadata
---
amdhsa.kernels:
  - .args:
      - .address_space:  global
        .offset:         0
        .size:           8
        .value_kind:     global_buffer
      - .offset:         8
        .size:           4
        .value_kind:     by_value
      - .offset:         16
        .size:           4
        .value_kind:     hidden_block_count_x
      - .offset:         20
        .size:           4
        .value_kind:     hidden_block_count_y
      - .offset:         24
        .size:           4
        .value_kind:     hidden_block_count_z
      - .offset:         28
        .size:           2
        .value_kind:     hidden_group_size_x
      - .offset:         30
        .size:           2
        .value_kind:     hidden_group_size_y
      - .offset:         32
        .size:           2
        .value_kind:     hidden_group_size_z
      - .offset:         34
        .size:           2
        .value_kind:     hidden_remainder_x
      - .offset:         36
        .size:           2
        .value_kind:     hidden_remainder_y
      - .offset:         38
        .size:           2
        .value_kind:     hidden_remainder_z
      - .offset:         56
        .size:           8
        .value_kind:     hidden_global_offset_x
      - .offset:         64
        .size:           8
        .value_kind:     hidden_global_offset_y
      - .offset:         72
        .size:           8
        .value_kind:     hidden_global_offset_z
      - .offset:         80
        .size:           2
        .value_kind:     hidden_grid_dims
    .group_segment_fixed_size: 0
    .kernarg_segment_align: 8
    .kernarg_segment_size: 272
    .language:       OpenCL C
    .language_version:
      - 2
      - 0
    .max_flat_workgroup_size: 1024
    .name:           _Z13complex_floatPci
    .private_segment_fixed_size: 0
    .sgpr_count:     18
    .sgpr_spill_count: 0
    .symbol:         _Z13complex_floatPci.kd
    .uniform_work_group_size: 1
    .uses_dynamic_stack: false
    .vgpr_count:     23
    .vgpr_spill_count: 0
    .wavefront_size: 64
  - .args:
      - .address_space:  global
        .offset:         0
        .size:           8
        .value_kind:     global_buffer
      - .offset:         8
        .size:           4
        .value_kind:     by_value
      - .offset:         16
        .size:           4
        .value_kind:     hidden_block_count_x
      - .offset:         20
        .size:           4
        .value_kind:     hidden_block_count_y
      - .offset:         24
        .size:           4
        .value_kind:     hidden_block_count_z
      - .offset:         28
        .size:           2
        .value_kind:     hidden_group_size_x
      - .offset:         30
        .size:           2
        .value_kind:     hidden_group_size_y
      - .offset:         32
        .size:           2
        .value_kind:     hidden_group_size_z
      - .offset:         34
        .size:           2
        .value_kind:     hidden_remainder_x
      - .offset:         36
        .size:           2
        .value_kind:     hidden_remainder_y
      - .offset:         38
        .size:           2
        .value_kind:     hidden_remainder_z
      - .offset:         56
        .size:           8
        .value_kind:     hidden_global_offset_x
      - .offset:         64
        .size:           8
        .value_kind:     hidden_global_offset_y
      - .offset:         72
        .size:           8
        .value_kind:     hidden_global_offset_z
      - .offset:         80
        .size:           2
        .value_kind:     hidden_grid_dims
    .group_segment_fixed_size: 0
    .kernarg_segment_align: 8
    .kernarg_segment_size: 272
    .language:       OpenCL C
    .language_version:
      - 2
      - 0
    .max_flat_workgroup_size: 1024
    .name:           _Z14complex_doublePci
    .private_segment_fixed_size: 0
    .sgpr_count:     18
    .sgpr_spill_count: 0
    .symbol:         _Z14complex_doublePci.kd
    .uniform_work_group_size: 1
    .uses_dynamic_stack: false
    .vgpr_count:     43
    .vgpr_spill_count: 0
    .wavefront_size: 64
  - .args:
      - .address_space:  global
        .offset:         0
        .size:           8
        .value_kind:     global_buffer
      - .offset:         8
        .size:           4
        .value_kind:     by_value
      - .offset:         16
        .size:           4
        .value_kind:     hidden_block_count_x
      - .offset:         20
        .size:           4
        .value_kind:     hidden_block_count_y
      - .offset:         24
        .size:           4
        .value_kind:     hidden_block_count_z
      - .offset:         28
        .size:           2
        .value_kind:     hidden_group_size_x
      - .offset:         30
        .size:           2
        .value_kind:     hidden_group_size_y
      - .offset:         32
        .size:           2
        .value_kind:     hidden_group_size_z
      - .offset:         34
        .size:           2
        .value_kind:     hidden_remainder_x
      - .offset:         36
        .size:           2
        .value_kind:     hidden_remainder_y
      - .offset:         38
        .size:           2
        .value_kind:     hidden_remainder_z
      - .offset:         56
        .size:           8
        .value_kind:     hidden_global_offset_x
      - .offset:         64
        .size:           8
        .value_kind:     hidden_global_offset_y
      - .offset:         72
        .size:           8
        .value_kind:     hidden_global_offset_z
      - .offset:         80
        .size:           2
        .value_kind:     hidden_grid_dims
    .group_segment_fixed_size: 0
    .kernarg_segment_align: 8
    .kernarg_segment_size: 272
    .language:       OpenCL C
    .language_version:
      - 2
      - 0
    .max_flat_workgroup_size: 1024
    .name:           _Z17ref_complex_floatPci
    .private_segment_fixed_size: 0
    .sgpr_count:     18
    .sgpr_spill_count: 0
    .symbol:         _Z17ref_complex_floatPci.kd
    .uniform_work_group_size: 1
    .uses_dynamic_stack: false
    .vgpr_count:     21
    .vgpr_spill_count: 0
    .wavefront_size: 64
  - .args:
      - .address_space:  global
        .offset:         0
        .size:           8
        .value_kind:     global_buffer
      - .offset:         8
        .size:           4
        .value_kind:     by_value
      - .offset:         16
        .size:           4
        .value_kind:     hidden_block_count_x
      - .offset:         20
        .size:           4
        .value_kind:     hidden_block_count_y
      - .offset:         24
        .size:           4
        .value_kind:     hidden_block_count_z
      - .offset:         28
        .size:           2
        .value_kind:     hidden_group_size_x
      - .offset:         30
        .size:           2
        .value_kind:     hidden_group_size_y
      - .offset:         32
        .size:           2
        .value_kind:     hidden_group_size_z
      - .offset:         34
        .size:           2
        .value_kind:     hidden_remainder_x
      - .offset:         36
        .size:           2
        .value_kind:     hidden_remainder_y
      - .offset:         38
        .size:           2
        .value_kind:     hidden_remainder_z
      - .offset:         56
        .size:           8
        .value_kind:     hidden_global_offset_x
      - .offset:         64
        .size:           8
        .value_kind:     hidden_global_offset_y
      - .offset:         72
        .size:           8
        .value_kind:     hidden_global_offset_z
      - .offset:         80
        .size:           2
        .value_kind:     hidden_grid_dims
    .group_segment_fixed_size: 0
    .kernarg_segment_align: 8
    .kernarg_segment_size: 272
    .language:       OpenCL C
    .language_version:
      - 2
      - 0
    .max_flat_workgroup_size: 1024
    .name:           _Z18ref_complex_doublePci
    .private_segment_fixed_size: 0
    .sgpr_count:     18
    .sgpr_spill_count: 0
    .symbol:         _Z18ref_complex_doublePci.kd
    .uniform_work_group_size: 1
    .uses_dynamic_stack: false
    .vgpr_count:     39
    .vgpr_spill_count: 0
    .wavefront_size: 64
amdhsa.target:   amdgcn-amd-amdhsa--gfx906
amdhsa.version:
  - 1
  - 2
...

	.end_amdgpu_metadata
